;; amdgpu-corpus repo=zjin-lcf/HeCBench kind=compiled arch=gfx1100 opt=O3
	.text
	.amdgcn_target "amdgcn-amd-amdhsa--gfx1100"
	.amdhsa_code_object_version 6
	.section	.text._Z12geglu_kernelIffLi160ELi1280ELi8ELi1EEvPT_PKS0_,"axG",@progbits,_Z12geglu_kernelIffLi160ELi1280ELi8ELi1EEvPT_PKS0_,comdat
	.protected	_Z12geglu_kernelIffLi160ELi1280ELi8ELi1EEvPT_PKS0_ ; -- Begin function _Z12geglu_kernelIffLi160ELi1280ELi8ELi1EEvPT_PKS0_
	.globl	_Z12geglu_kernelIffLi160ELi1280ELi8ELi1EEvPT_PKS0_
	.p2align	8
	.type	_Z12geglu_kernelIffLi160ELi1280ELi8ELi1EEvPT_PKS0_,@function
_Z12geglu_kernelIffLi160ELi1280ELi8ELi1EEvPT_PKS0_: ; @_Z12geglu_kernelIffLi160ELi1280ELi8ELi1EEvPT_PKS0_
; %bb.0:
	s_load_b128 s[0:3], s[0:1], 0x0
	s_lshl_b32 s6, s15, 1
	s_mul_i32 s4, s15, 0x2800
	s_mul_hi_i32 s5, s6, 0x1400
	v_lshlrev_b32_e32 v5, 5, v0
                                        ; implicit-def: $vgpr18
	s_waitcnt lgkmcnt(0)
	s_add_u32 s4, s2, s4
	s_addc_u32 s5, s3, s5
	s_or_b32 s6, s6, 1
	s_delay_alu instid0(SALU_CYCLE_1)
	s_mul_i32 s7, s6, 0x1400
	s_mul_hi_i32 s6, s6, 0x1400
	s_add_u32 s2, s2, s7
	s_addc_u32 s3, s3, s6
	s_clause 0x3
	global_load_b128 v[13:16], v5, s[2:3]
	global_load_b128 v[9:12], v5, s[2:3] offset:16
	global_load_b128 v[1:4], v5, s[4:5] offset:16
	global_load_b128 v[5:8], v5, s[4:5]
	s_waitcnt vmcnt(3)
	v_mul_f32_e32 v17, 0x3f3504f3, v13
	s_delay_alu instid0(VALU_DEP_1) | instskip(NEXT) | instid1(VALU_DEP_1)
	v_cmp_nlt_f32_e64 s2, |v17|, 1.0
	s_and_saveexec_b32 s3, s2
	s_delay_alu instid0(SALU_CYCLE_1)
	s_xor_b32 s2, exec_lo, s3
	s_cbranch_execz .LBB0_2
; %bb.1:
	s_mov_b32 s3, 0x378e98ab
	s_delay_alu instid0(SALU_CYCLE_1) | instskip(NEXT) | instid1(VALU_DEP_1)
	v_fma_f32 v18, |v17|, s3, 0xb9c68948
	v_fma_f32 v18, |v17|, v18, 0x3b7cd369
	s_delay_alu instid0(VALU_DEP_1) | instskip(NEXT) | instid1(VALU_DEP_1)
	v_fma_f32 v18, |v17|, v18, 0xbcc618b2
	v_fma_f32 v18, |v17|, v18, 0x3dda74e4
	s_delay_alu instid0(VALU_DEP_1) | instskip(NEXT) | instid1(VALU_DEP_1)
	;; [unrolled: 3-line block ×3, first 2 shown]
	v_fma_f32 v18, |v17|, v18, |v17|
	v_mul_f32_e32 v19, 0xbfb8aa3b, v18
	v_cmp_nlt_f32_e32 vcc_lo, 0x42ce8ed0, v18
	s_delay_alu instid0(VALU_DEP_2) | instskip(SKIP_1) | instid1(VALU_DEP_1)
	v_fma_f32 v20, 0xbfb8aa3b, v18, -v19
	v_rndne_f32_e32 v21, v19
	v_dual_fmamk_f32 v20, v18, 0xb2a5705f, v20 :: v_dual_sub_f32 v19, v19, v21
	s_delay_alu instid0(VALU_DEP_1) | instskip(SKIP_1) | instid1(VALU_DEP_2)
	v_add_f32_e32 v19, v19, v20
	v_cvt_i32_f32_e32 v20, v21
	v_exp_f32_e32 v19, v19
	s_waitcnt_depctr 0xfff
	v_ldexp_f32 v19, v19, v20
	s_delay_alu instid0(VALU_DEP_1) | instskip(SKIP_1) | instid1(VALU_DEP_2)
	v_cndmask_b32_e32 v19, 0, v19, vcc_lo
	v_cmp_ngt_f32_e32 vcc_lo, 0xc2b17218, v18
	v_cndmask_b32_e32 v18, 0x7f800000, v19, vcc_lo
	s_delay_alu instid0(VALU_DEP_1)
	v_sub_f32_e32 v18, 1.0, v18
.LBB0_2:
	s_and_not1_saveexec_b32 s2, s2
; %bb.3:
	v_mul_f32_e32 v18, v17, v17
	s_mov_b32 s3, 0xba1345e1
	s_delay_alu instid0(VALU_DEP_1) | instid1(SALU_CYCLE_1)
	v_fmaak_f32 v19, s3, v18, 0x3ba10414
	s_delay_alu instid0(VALU_DEP_1) | instskip(NEXT) | instid1(VALU_DEP_1)
	v_fmaak_f32 v19, v18, v19, 0xbcdac9b8
	v_fmaak_f32 v19, v18, v19, 0x3de703be
	s_delay_alu instid0(VALU_DEP_1) | instskip(NEXT) | instid1(VALU_DEP_1)
	v_fmaak_f32 v19, v18, v19, 0xbec09330
	v_fmaak_f32 v18, v18, v19, 0x3e0375d0
	s_delay_alu instid0(VALU_DEP_1)
	v_fma_f32 v18, |v17|, v18, |v17|
; %bb.4:
	s_or_b32 exec_lo, exec_lo, s2
	v_mul_f32_e32 v19, 0x3f3504f3, v14
                                        ; implicit-def: $vgpr20
	s_delay_alu instid0(VALU_DEP_1) | instskip(NEXT) | instid1(VALU_DEP_1)
	v_cmp_nlt_f32_e64 s2, |v19|, 1.0
	s_and_saveexec_b32 s3, s2
	s_delay_alu instid0(SALU_CYCLE_1)
	s_xor_b32 s2, exec_lo, s3
	s_cbranch_execz .LBB0_6
; %bb.5:
	s_mov_b32 s3, 0x378e98ab
	s_delay_alu instid0(SALU_CYCLE_1) | instskip(NEXT) | instid1(VALU_DEP_1)
	v_fma_f32 v20, |v19|, s3, 0xb9c68948
	v_fma_f32 v20, |v19|, v20, 0x3b7cd369
	s_delay_alu instid0(VALU_DEP_1) | instskip(NEXT) | instid1(VALU_DEP_1)
	v_fma_f32 v20, |v19|, v20, 0xbcc618b2
	v_fma_f32 v20, |v19|, v20, 0x3dda74e4
	s_delay_alu instid0(VALU_DEP_1) | instskip(NEXT) | instid1(VALU_DEP_1)
	v_fma_f32 v20, |v19|, v20, 0x3f228afd
	v_fma_f32 v20, |v19|, v20, 0x3e03c728
	s_delay_alu instid0(VALU_DEP_1) | instskip(NEXT) | instid1(VALU_DEP_1)
	v_fma_f32 v20, |v19|, v20, |v19|
	v_mul_f32_e32 v21, 0xbfb8aa3b, v20
	v_cmp_nlt_f32_e32 vcc_lo, 0x42ce8ed0, v20
	s_delay_alu instid0(VALU_DEP_2) | instskip(SKIP_1) | instid1(VALU_DEP_1)
	v_fma_f32 v22, 0xbfb8aa3b, v20, -v21
	v_rndne_f32_e32 v23, v21
	v_dual_fmamk_f32 v22, v20, 0xb2a5705f, v22 :: v_dual_sub_f32 v21, v21, v23
	s_delay_alu instid0(VALU_DEP_1) | instskip(SKIP_1) | instid1(VALU_DEP_2)
	v_add_f32_e32 v21, v21, v22
	v_cvt_i32_f32_e32 v22, v23
	v_exp_f32_e32 v21, v21
	s_waitcnt_depctr 0xfff
	v_ldexp_f32 v21, v21, v22
	s_delay_alu instid0(VALU_DEP_1) | instskip(SKIP_1) | instid1(VALU_DEP_2)
	v_cndmask_b32_e32 v21, 0, v21, vcc_lo
	v_cmp_ngt_f32_e32 vcc_lo, 0xc2b17218, v20
	v_cndmask_b32_e32 v20, 0x7f800000, v21, vcc_lo
	s_delay_alu instid0(VALU_DEP_1)
	v_sub_f32_e32 v20, 1.0, v20
.LBB0_6:
	s_and_not1_saveexec_b32 s2, s2
; %bb.7:
	v_mul_f32_e32 v20, v19, v19
	s_mov_b32 s3, 0xba1345e1
	s_delay_alu instid0(VALU_DEP_1) | instid1(SALU_CYCLE_1)
	v_fmaak_f32 v21, s3, v20, 0x3ba10414
	s_delay_alu instid0(VALU_DEP_1) | instskip(NEXT) | instid1(VALU_DEP_1)
	v_fmaak_f32 v21, v20, v21, 0xbcdac9b8
	v_fmaak_f32 v21, v20, v21, 0x3de703be
	s_delay_alu instid0(VALU_DEP_1) | instskip(NEXT) | instid1(VALU_DEP_1)
	v_fmaak_f32 v21, v20, v21, 0xbec09330
	v_fmaak_f32 v20, v20, v21, 0x3e0375d0
	s_delay_alu instid0(VALU_DEP_1)
	v_fma_f32 v20, |v19|, v20, |v19|
; %bb.8:
	s_or_b32 exec_lo, exec_lo, s2
	v_mul_f32_e32 v21, 0x3f3504f3, v15
                                        ; implicit-def: $vgpr22
	s_delay_alu instid0(VALU_DEP_1) | instskip(NEXT) | instid1(VALU_DEP_1)
	v_cmp_nlt_f32_e64 s2, |v21|, 1.0
	s_and_saveexec_b32 s3, s2
	s_delay_alu instid0(SALU_CYCLE_1)
	s_xor_b32 s2, exec_lo, s3
	s_cbranch_execz .LBB0_10
; %bb.9:
	s_mov_b32 s3, 0x378e98ab
	s_delay_alu instid0(SALU_CYCLE_1) | instskip(NEXT) | instid1(VALU_DEP_1)
	v_fma_f32 v22, |v21|, s3, 0xb9c68948
	v_fma_f32 v22, |v21|, v22, 0x3b7cd369
	s_delay_alu instid0(VALU_DEP_1) | instskip(NEXT) | instid1(VALU_DEP_1)
	v_fma_f32 v22, |v21|, v22, 0xbcc618b2
	v_fma_f32 v22, |v21|, v22, 0x3dda74e4
	s_delay_alu instid0(VALU_DEP_1) | instskip(NEXT) | instid1(VALU_DEP_1)
	;; [unrolled: 3-line block ×3, first 2 shown]
	v_fma_f32 v22, |v21|, v22, |v21|
	v_mul_f32_e32 v23, 0xbfb8aa3b, v22
	v_cmp_nlt_f32_e32 vcc_lo, 0x42ce8ed0, v22
	s_delay_alu instid0(VALU_DEP_2) | instskip(SKIP_1) | instid1(VALU_DEP_1)
	v_fma_f32 v24, 0xbfb8aa3b, v22, -v23
	v_rndne_f32_e32 v25, v23
	v_dual_fmamk_f32 v24, v22, 0xb2a5705f, v24 :: v_dual_sub_f32 v23, v23, v25
	s_delay_alu instid0(VALU_DEP_1) | instskip(SKIP_1) | instid1(VALU_DEP_2)
	v_add_f32_e32 v23, v23, v24
	v_cvt_i32_f32_e32 v24, v25
	v_exp_f32_e32 v23, v23
	s_waitcnt_depctr 0xfff
	v_ldexp_f32 v23, v23, v24
	s_delay_alu instid0(VALU_DEP_1) | instskip(SKIP_1) | instid1(VALU_DEP_2)
	v_cndmask_b32_e32 v23, 0, v23, vcc_lo
	v_cmp_ngt_f32_e32 vcc_lo, 0xc2b17218, v22
	v_cndmask_b32_e32 v22, 0x7f800000, v23, vcc_lo
	s_delay_alu instid0(VALU_DEP_1)
	v_sub_f32_e32 v22, 1.0, v22
.LBB0_10:
	s_and_not1_saveexec_b32 s2, s2
; %bb.11:
	v_mul_f32_e32 v22, v21, v21
	s_mov_b32 s3, 0xba1345e1
	s_delay_alu instid0(VALU_DEP_1) | instid1(SALU_CYCLE_1)
	v_fmaak_f32 v23, s3, v22, 0x3ba10414
	s_delay_alu instid0(VALU_DEP_1) | instskip(NEXT) | instid1(VALU_DEP_1)
	v_fmaak_f32 v23, v22, v23, 0xbcdac9b8
	v_fmaak_f32 v23, v22, v23, 0x3de703be
	s_delay_alu instid0(VALU_DEP_1) | instskip(NEXT) | instid1(VALU_DEP_1)
	v_fmaak_f32 v23, v22, v23, 0xbec09330
	v_fmaak_f32 v22, v22, v23, 0x3e0375d0
	s_delay_alu instid0(VALU_DEP_1)
	v_fma_f32 v22, |v21|, v22, |v21|
; %bb.12:
	s_or_b32 exec_lo, exec_lo, s2
	v_mul_f32_e32 v23, 0x3f3504f3, v16
                                        ; implicit-def: $vgpr24
	s_delay_alu instid0(VALU_DEP_1) | instskip(NEXT) | instid1(VALU_DEP_1)
	v_cmp_nlt_f32_e64 s2, |v23|, 1.0
	s_and_saveexec_b32 s3, s2
	s_delay_alu instid0(SALU_CYCLE_1)
	s_xor_b32 s2, exec_lo, s3
	s_cbranch_execz .LBB0_14
; %bb.13:
	s_mov_b32 s3, 0x378e98ab
	s_delay_alu instid0(SALU_CYCLE_1) | instskip(NEXT) | instid1(VALU_DEP_1)
	v_fma_f32 v24, |v23|, s3, 0xb9c68948
	v_fma_f32 v24, |v23|, v24, 0x3b7cd369
	s_delay_alu instid0(VALU_DEP_1) | instskip(NEXT) | instid1(VALU_DEP_1)
	v_fma_f32 v24, |v23|, v24, 0xbcc618b2
	v_fma_f32 v24, |v23|, v24, 0x3dda74e4
	s_delay_alu instid0(VALU_DEP_1) | instskip(NEXT) | instid1(VALU_DEP_1)
	;; [unrolled: 3-line block ×3, first 2 shown]
	v_fma_f32 v24, |v23|, v24, |v23|
	v_mul_f32_e32 v25, 0xbfb8aa3b, v24
	v_cmp_nlt_f32_e32 vcc_lo, 0x42ce8ed0, v24
	s_delay_alu instid0(VALU_DEP_2) | instskip(SKIP_1) | instid1(VALU_DEP_1)
	v_fma_f32 v26, 0xbfb8aa3b, v24, -v25
	v_rndne_f32_e32 v27, v25
	v_dual_fmamk_f32 v26, v24, 0xb2a5705f, v26 :: v_dual_sub_f32 v25, v25, v27
	s_delay_alu instid0(VALU_DEP_1) | instskip(SKIP_1) | instid1(VALU_DEP_2)
	v_add_f32_e32 v25, v25, v26
	v_cvt_i32_f32_e32 v26, v27
	v_exp_f32_e32 v25, v25
	s_waitcnt_depctr 0xfff
	v_ldexp_f32 v25, v25, v26
	s_delay_alu instid0(VALU_DEP_1) | instskip(SKIP_1) | instid1(VALU_DEP_2)
	v_cndmask_b32_e32 v25, 0, v25, vcc_lo
	v_cmp_ngt_f32_e32 vcc_lo, 0xc2b17218, v24
	v_cndmask_b32_e32 v24, 0x7f800000, v25, vcc_lo
	s_delay_alu instid0(VALU_DEP_1)
	v_sub_f32_e32 v24, 1.0, v24
.LBB0_14:
	s_and_not1_saveexec_b32 s2, s2
; %bb.15:
	v_mul_f32_e32 v24, v23, v23
	s_mov_b32 s3, 0xba1345e1
	s_delay_alu instid0(VALU_DEP_1) | instid1(SALU_CYCLE_1)
	v_fmaak_f32 v25, s3, v24, 0x3ba10414
	s_delay_alu instid0(VALU_DEP_1) | instskip(NEXT) | instid1(VALU_DEP_1)
	v_fmaak_f32 v25, v24, v25, 0xbcdac9b8
	v_fmaak_f32 v25, v24, v25, 0x3de703be
	s_delay_alu instid0(VALU_DEP_1) | instskip(NEXT) | instid1(VALU_DEP_1)
	v_fmaak_f32 v25, v24, v25, 0xbec09330
	v_fmaak_f32 v24, v24, v25, 0x3e0375d0
	s_delay_alu instid0(VALU_DEP_1)
	v_fma_f32 v24, |v23|, v24, |v23|
; %bb.16:
	s_or_b32 exec_lo, exec_lo, s2
	s_waitcnt vmcnt(2)
	v_mul_f32_e32 v25, 0x3f3504f3, v9
                                        ; implicit-def: $vgpr26
	s_delay_alu instid0(VALU_DEP_1) | instskip(NEXT) | instid1(VALU_DEP_1)
	v_cmp_nlt_f32_e64 s2, |v25|, 1.0
	s_and_saveexec_b32 s3, s2
	s_delay_alu instid0(SALU_CYCLE_1)
	s_xor_b32 s2, exec_lo, s3
	s_cbranch_execz .LBB0_18
; %bb.17:
	s_mov_b32 s3, 0x378e98ab
	s_delay_alu instid0(SALU_CYCLE_1) | instskip(NEXT) | instid1(VALU_DEP_1)
	v_fma_f32 v26, |v25|, s3, 0xb9c68948
	v_fma_f32 v26, |v25|, v26, 0x3b7cd369
	s_delay_alu instid0(VALU_DEP_1) | instskip(NEXT) | instid1(VALU_DEP_1)
	v_fma_f32 v26, |v25|, v26, 0xbcc618b2
	v_fma_f32 v26, |v25|, v26, 0x3dda74e4
	s_delay_alu instid0(VALU_DEP_1) | instskip(NEXT) | instid1(VALU_DEP_1)
	;; [unrolled: 3-line block ×3, first 2 shown]
	v_fma_f32 v26, |v25|, v26, |v25|
	v_mul_f32_e32 v27, 0xbfb8aa3b, v26
	v_cmp_nlt_f32_e32 vcc_lo, 0x42ce8ed0, v26
	s_delay_alu instid0(VALU_DEP_2) | instskip(SKIP_1) | instid1(VALU_DEP_1)
	v_fma_f32 v28, 0xbfb8aa3b, v26, -v27
	v_rndne_f32_e32 v29, v27
	v_dual_fmamk_f32 v28, v26, 0xb2a5705f, v28 :: v_dual_sub_f32 v27, v27, v29
	s_delay_alu instid0(VALU_DEP_1) | instskip(SKIP_1) | instid1(VALU_DEP_2)
	v_add_f32_e32 v27, v27, v28
	v_cvt_i32_f32_e32 v28, v29
	v_exp_f32_e32 v27, v27
	s_waitcnt_depctr 0xfff
	v_ldexp_f32 v27, v27, v28
	s_delay_alu instid0(VALU_DEP_1) | instskip(SKIP_1) | instid1(VALU_DEP_2)
	v_cndmask_b32_e32 v27, 0, v27, vcc_lo
	v_cmp_ngt_f32_e32 vcc_lo, 0xc2b17218, v26
	v_cndmask_b32_e32 v26, 0x7f800000, v27, vcc_lo
	s_delay_alu instid0(VALU_DEP_1)
	v_sub_f32_e32 v26, 1.0, v26
.LBB0_18:
	s_and_not1_saveexec_b32 s2, s2
; %bb.19:
	v_mul_f32_e32 v26, v25, v25
	s_mov_b32 s3, 0xba1345e1
	s_delay_alu instid0(VALU_DEP_1) | instid1(SALU_CYCLE_1)
	v_fmaak_f32 v27, s3, v26, 0x3ba10414
	s_delay_alu instid0(VALU_DEP_1) | instskip(NEXT) | instid1(VALU_DEP_1)
	v_fmaak_f32 v27, v26, v27, 0xbcdac9b8
	v_fmaak_f32 v27, v26, v27, 0x3de703be
	s_delay_alu instid0(VALU_DEP_1) | instskip(NEXT) | instid1(VALU_DEP_1)
	v_fmaak_f32 v27, v26, v27, 0xbec09330
	v_fmaak_f32 v26, v26, v27, 0x3e0375d0
	s_delay_alu instid0(VALU_DEP_1)
	v_fma_f32 v26, |v25|, v26, |v25|
; %bb.20:
	s_or_b32 exec_lo, exec_lo, s2
	v_mul_f32_e32 v27, 0x3f3504f3, v10
                                        ; implicit-def: $vgpr28
	s_delay_alu instid0(VALU_DEP_1) | instskip(NEXT) | instid1(VALU_DEP_1)
	v_cmp_nlt_f32_e64 s2, |v27|, 1.0
	s_and_saveexec_b32 s3, s2
	s_delay_alu instid0(SALU_CYCLE_1)
	s_xor_b32 s2, exec_lo, s3
	s_cbranch_execz .LBB0_22
; %bb.21:
	s_mov_b32 s3, 0x378e98ab
	s_delay_alu instid0(SALU_CYCLE_1) | instskip(NEXT) | instid1(VALU_DEP_1)
	v_fma_f32 v28, |v27|, s3, 0xb9c68948
	v_fma_f32 v28, |v27|, v28, 0x3b7cd369
	s_delay_alu instid0(VALU_DEP_1) | instskip(NEXT) | instid1(VALU_DEP_1)
	v_fma_f32 v28, |v27|, v28, 0xbcc618b2
	v_fma_f32 v28, |v27|, v28, 0x3dda74e4
	s_delay_alu instid0(VALU_DEP_1) | instskip(NEXT) | instid1(VALU_DEP_1)
	;; [unrolled: 3-line block ×3, first 2 shown]
	v_fma_f32 v28, |v27|, v28, |v27|
	v_mul_f32_e32 v29, 0xbfb8aa3b, v28
	v_cmp_nlt_f32_e32 vcc_lo, 0x42ce8ed0, v28
	s_delay_alu instid0(VALU_DEP_2) | instskip(SKIP_1) | instid1(VALU_DEP_1)
	v_fma_f32 v30, 0xbfb8aa3b, v28, -v29
	v_rndne_f32_e32 v31, v29
	v_dual_fmamk_f32 v30, v28, 0xb2a5705f, v30 :: v_dual_sub_f32 v29, v29, v31
	s_delay_alu instid0(VALU_DEP_1) | instskip(SKIP_1) | instid1(VALU_DEP_2)
	v_add_f32_e32 v29, v29, v30
	v_cvt_i32_f32_e32 v30, v31
	v_exp_f32_e32 v29, v29
	s_waitcnt_depctr 0xfff
	v_ldexp_f32 v29, v29, v30
	s_delay_alu instid0(VALU_DEP_1) | instskip(SKIP_1) | instid1(VALU_DEP_2)
	v_cndmask_b32_e32 v29, 0, v29, vcc_lo
	v_cmp_ngt_f32_e32 vcc_lo, 0xc2b17218, v28
	v_cndmask_b32_e32 v28, 0x7f800000, v29, vcc_lo
	s_delay_alu instid0(VALU_DEP_1)
	v_sub_f32_e32 v28, 1.0, v28
.LBB0_22:
	s_and_not1_saveexec_b32 s2, s2
; %bb.23:
	v_mul_f32_e32 v28, v27, v27
	s_mov_b32 s3, 0xba1345e1
	s_delay_alu instid0(VALU_DEP_1) | instid1(SALU_CYCLE_1)
	v_fmaak_f32 v29, s3, v28, 0x3ba10414
	s_delay_alu instid0(VALU_DEP_1) | instskip(NEXT) | instid1(VALU_DEP_1)
	v_fmaak_f32 v29, v28, v29, 0xbcdac9b8
	v_fmaak_f32 v29, v28, v29, 0x3de703be
	s_delay_alu instid0(VALU_DEP_1) | instskip(NEXT) | instid1(VALU_DEP_1)
	v_fmaak_f32 v29, v28, v29, 0xbec09330
	v_fmaak_f32 v28, v28, v29, 0x3e0375d0
	s_delay_alu instid0(VALU_DEP_1)
	v_fma_f32 v28, |v27|, v28, |v27|
; %bb.24:
	s_or_b32 exec_lo, exec_lo, s2
	v_mul_f32_e32 v29, 0x3f3504f3, v11
                                        ; implicit-def: $vgpr31
	s_delay_alu instid0(VALU_DEP_1) | instskip(NEXT) | instid1(VALU_DEP_1)
	v_cmp_nlt_f32_e64 s2, |v29|, 1.0
	s_and_saveexec_b32 s3, s2
	s_delay_alu instid0(SALU_CYCLE_1)
	s_xor_b32 s2, exec_lo, s3
	s_cbranch_execz .LBB0_26
; %bb.25:
	s_mov_b32 s3, 0x378e98ab
	s_delay_alu instid0(SALU_CYCLE_1) | instskip(NEXT) | instid1(VALU_DEP_1)
	v_fma_f32 v30, |v29|, s3, 0xb9c68948
	v_fma_f32 v30, |v29|, v30, 0x3b7cd369
	s_delay_alu instid0(VALU_DEP_1) | instskip(NEXT) | instid1(VALU_DEP_1)
	v_fma_f32 v30, |v29|, v30, 0xbcc618b2
	v_fma_f32 v30, |v29|, v30, 0x3dda74e4
	s_delay_alu instid0(VALU_DEP_1) | instskip(NEXT) | instid1(VALU_DEP_1)
	;; [unrolled: 3-line block ×3, first 2 shown]
	v_fma_f32 v30, |v29|, v30, |v29|
	v_mul_f32_e32 v31, 0xbfb8aa3b, v30
	v_cmp_nlt_f32_e32 vcc_lo, 0x42ce8ed0, v30
	s_delay_alu instid0(VALU_DEP_2) | instskip(SKIP_1) | instid1(VALU_DEP_1)
	v_fma_f32 v32, 0xbfb8aa3b, v30, -v31
	v_rndne_f32_e32 v33, v31
	v_dual_fmamk_f32 v32, v30, 0xb2a5705f, v32 :: v_dual_sub_f32 v31, v31, v33
	s_delay_alu instid0(VALU_DEP_1) | instskip(SKIP_1) | instid1(VALU_DEP_2)
	v_add_f32_e32 v31, v31, v32
	v_cvt_i32_f32_e32 v32, v33
	v_exp_f32_e32 v31, v31
	s_waitcnt_depctr 0xfff
	v_ldexp_f32 v31, v31, v32
	s_delay_alu instid0(VALU_DEP_1) | instskip(SKIP_1) | instid1(VALU_DEP_2)
	v_cndmask_b32_e32 v31, 0, v31, vcc_lo
	v_cmp_ngt_f32_e32 vcc_lo, 0xc2b17218, v30
	v_cndmask_b32_e32 v30, 0x7f800000, v31, vcc_lo
	s_delay_alu instid0(VALU_DEP_1)
	v_sub_f32_e32 v31, 1.0, v30
.LBB0_26:
	s_and_not1_saveexec_b32 s2, s2
; %bb.27:
	v_mul_f32_e32 v30, v29, v29
	s_mov_b32 s3, 0xba1345e1
	s_delay_alu instid0(VALU_DEP_1) | instid1(SALU_CYCLE_1)
	v_fmaak_f32 v31, s3, v30, 0x3ba10414
	s_delay_alu instid0(VALU_DEP_1) | instskip(NEXT) | instid1(VALU_DEP_1)
	v_fmaak_f32 v31, v30, v31, 0xbcdac9b8
	v_fmaak_f32 v31, v30, v31, 0x3de703be
	s_delay_alu instid0(VALU_DEP_1) | instskip(NEXT) | instid1(VALU_DEP_1)
	v_fmaak_f32 v31, v30, v31, 0xbec09330
	v_fmaak_f32 v30, v30, v31, 0x3e0375d0
	s_delay_alu instid0(VALU_DEP_1)
	v_fma_f32 v31, |v29|, v30, |v29|
; %bb.28:
	s_or_b32 exec_lo, exec_lo, s2
	v_mul_f32_e32 v30, 0x3f3504f3, v12
	v_lshlrev_b32_e32 v0, 3, v0
                                        ; implicit-def: $vgpr32
	s_delay_alu instid0(VALU_DEP_2) | instskip(NEXT) | instid1(VALU_DEP_1)
	v_cmp_nlt_f32_e64 s2, |v30|, 1.0
	s_and_saveexec_b32 s3, s2
	s_delay_alu instid0(SALU_CYCLE_1)
	s_xor_b32 s2, exec_lo, s3
	s_cbranch_execz .LBB0_30
; %bb.29:
	s_mov_b32 s3, 0x378e98ab
	s_delay_alu instid0(SALU_CYCLE_1) | instskip(NEXT) | instid1(VALU_DEP_1)
	v_fma_f32 v32, |v30|, s3, 0xb9c68948
	v_fma_f32 v32, |v30|, v32, 0x3b7cd369
	s_delay_alu instid0(VALU_DEP_1) | instskip(NEXT) | instid1(VALU_DEP_1)
	v_fma_f32 v32, |v30|, v32, 0xbcc618b2
	v_fma_f32 v32, |v30|, v32, 0x3dda74e4
	s_delay_alu instid0(VALU_DEP_1) | instskip(NEXT) | instid1(VALU_DEP_1)
	;; [unrolled: 3-line block ×3, first 2 shown]
	v_fma_f32 v32, |v30|, v32, |v30|
	v_mul_f32_e32 v33, 0xbfb8aa3b, v32
	v_cmp_nlt_f32_e32 vcc_lo, 0x42ce8ed0, v32
	s_delay_alu instid0(VALU_DEP_2) | instskip(SKIP_1) | instid1(VALU_DEP_1)
	v_fma_f32 v34, 0xbfb8aa3b, v32, -v33
	v_rndne_f32_e32 v35, v33
	v_dual_fmamk_f32 v34, v32, 0xb2a5705f, v34 :: v_dual_sub_f32 v33, v33, v35
	s_delay_alu instid0(VALU_DEP_1) | instskip(SKIP_1) | instid1(VALU_DEP_2)
	v_add_f32_e32 v33, v33, v34
	v_cvt_i32_f32_e32 v34, v35
	v_exp_f32_e32 v33, v33
	s_waitcnt_depctr 0xfff
	v_ldexp_f32 v33, v33, v34
	s_delay_alu instid0(VALU_DEP_1) | instskip(SKIP_1) | instid1(VALU_DEP_2)
	v_cndmask_b32_e32 v33, 0, v33, vcc_lo
	v_cmp_ngt_f32_e32 vcc_lo, 0xc2b17218, v32
	v_cndmask_b32_e32 v32, 0x7f800000, v33, vcc_lo
	s_delay_alu instid0(VALU_DEP_1)
	v_sub_f32_e32 v32, 1.0, v32
.LBB0_30:
	s_and_not1_saveexec_b32 s2, s2
; %bb.31:
	v_mul_f32_e32 v32, v30, v30
	s_mov_b32 s3, 0xba1345e1
	s_delay_alu instid0(VALU_DEP_1) | instid1(SALU_CYCLE_1)
	v_fmaak_f32 v33, s3, v32, 0x3ba10414
	s_delay_alu instid0(VALU_DEP_1) | instskip(NEXT) | instid1(VALU_DEP_1)
	v_fmaak_f32 v33, v32, v33, 0xbcdac9b8
	v_fmaak_f32 v33, v32, v33, 0x3de703be
	s_delay_alu instid0(VALU_DEP_1) | instskip(NEXT) | instid1(VALU_DEP_1)
	v_fmaak_f32 v33, v32, v33, 0xbec09330
	v_fmaak_f32 v32, v32, v33, 0x3e0375d0
	s_delay_alu instid0(VALU_DEP_1)
	v_fma_f32 v32, |v30|, v32, |v30|
; %bb.32:
	s_or_b32 exec_lo, exec_lo, s2
	v_bfi_b32 v29, 0x7fffffff, v31, v29
	v_bfi_b32 v27, 0x7fffffff, v28, v27
	v_dual_mul_f32 v11, 0.5, v11 :: v_dual_mul_f32 v10, 0.5, v10
	v_bfi_b32 v25, 0x7fffffff, v26, v25
	s_delay_alu instid0(VALU_DEP_3) | instskip(SKIP_3) | instid1(VALU_DEP_4)
	v_dual_add_f32 v26, 1.0, v29 :: v_dual_add_f32 v27, 1.0, v27
	v_mul_f32_e32 v9, 0.5, v9
	v_bfi_b32 v23, 0x7fffffff, v24, v23
	v_bfi_b32 v17, 0x7fffffff, v18, v17
	v_dual_mul_f32 v11, v11, v26 :: v_dual_mul_f32 v10, v10, v27
	v_add_f32_e32 v25, 1.0, v25
	v_bfi_b32 v18, 0x7fffffff, v32, v30
	s_mul_i32 s2, s15, 0x1400
	v_mul_f32_e32 v14, 0.5, v14
	s_waitcnt vmcnt(1)
	v_dual_mul_f32 v2, v2, v10 :: v_dual_mul_f32 v9, v9, v25
	v_mul_f32_e32 v10, 0.5, v16
	v_bfi_b32 v16, 0x7fffffff, v20, v19
	v_mul_f32_e32 v3, v3, v11
	v_dual_add_f32 v11, 1.0, v23 :: v_dual_add_f32 v18, 1.0, v18
	v_dual_mul_f32 v1, v1, v9 :: v_dual_mul_f32 v12, 0.5, v12
	v_bfi_b32 v9, 0x7fffffff, v22, v21
	v_dual_add_f32 v16, 1.0, v16 :: v_dual_mul_f32 v15, 0.5, v15
	s_delay_alu instid0(VALU_DEP_4) | instskip(NEXT) | instid1(VALU_DEP_3)
	v_mul_f32_e32 v10, v10, v11
	v_dual_mul_f32 v12, v12, v18 :: v_dual_add_f32 v9, 1.0, v9
	v_mul_f32_e32 v13, 0.5, v13
	s_waitcnt vmcnt(0)
	s_delay_alu instid0(VALU_DEP_3) | instskip(SKIP_2) | instid1(VALU_DEP_3)
	v_dual_mul_f32 v11, v14, v16 :: v_dual_mul_f32 v8, v8, v10
	v_add_f32_e32 v17, 1.0, v17
	v_dual_mul_f32 v9, v15, v9 :: v_dual_mul_f32 v4, v4, v12
	v_mul_f32_e32 v6, v6, v11
	s_delay_alu instid0(VALU_DEP_3) | instskip(NEXT) | instid1(VALU_DEP_3)
	v_dual_mul_f32 v13, v13, v17 :: v_dual_lshlrev_b32 v0, 2, v0
	v_mul_f32_e32 v7, v7, v9
	s_mul_hi_i32 s3, s15, 0x1400
	s_add_u32 s0, s0, s2
	s_addc_u32 s1, s1, s3
	v_mul_f32_e32 v5, v5, v13
	s_clause 0x1
	global_store_b128 v0, v[5:8], s[0:1]
	global_store_b128 v0, v[1:4], s[0:1] offset:16
	s_nop 0
	s_sendmsg sendmsg(MSG_DEALLOC_VGPRS)
	s_endpgm
	.section	.rodata,"a",@progbits
	.p2align	6, 0x0
	.amdhsa_kernel _Z12geglu_kernelIffLi160ELi1280ELi8ELi1EEvPT_PKS0_
		.amdhsa_group_segment_fixed_size 0
		.amdhsa_private_segment_fixed_size 0
		.amdhsa_kernarg_size 16
		.amdhsa_user_sgpr_count 15
		.amdhsa_user_sgpr_dispatch_ptr 0
		.amdhsa_user_sgpr_queue_ptr 0
		.amdhsa_user_sgpr_kernarg_segment_ptr 1
		.amdhsa_user_sgpr_dispatch_id 0
		.amdhsa_user_sgpr_private_segment_size 0
		.amdhsa_wavefront_size32 1
		.amdhsa_uses_dynamic_stack 0
		.amdhsa_enable_private_segment 0
		.amdhsa_system_sgpr_workgroup_id_x 1
		.amdhsa_system_sgpr_workgroup_id_y 0
		.amdhsa_system_sgpr_workgroup_id_z 0
		.amdhsa_system_sgpr_workgroup_info 0
		.amdhsa_system_vgpr_workitem_id 0
		.amdhsa_next_free_vgpr 36
		.amdhsa_next_free_sgpr 16
		.amdhsa_reserve_vcc 1
		.amdhsa_float_round_mode_32 0
		.amdhsa_float_round_mode_16_64 0
		.amdhsa_float_denorm_mode_32 3
		.amdhsa_float_denorm_mode_16_64 3
		.amdhsa_dx10_clamp 1
		.amdhsa_ieee_mode 1
		.amdhsa_fp16_overflow 0
		.amdhsa_workgroup_processor_mode 1
		.amdhsa_memory_ordered 1
		.amdhsa_forward_progress 0
		.amdhsa_shared_vgpr_count 0
		.amdhsa_exception_fp_ieee_invalid_op 0
		.amdhsa_exception_fp_denorm_src 0
		.amdhsa_exception_fp_ieee_div_zero 0
		.amdhsa_exception_fp_ieee_overflow 0
		.amdhsa_exception_fp_ieee_underflow 0
		.amdhsa_exception_fp_ieee_inexact 0
		.amdhsa_exception_int_div_zero 0
	.end_amdhsa_kernel
	.section	.text._Z12geglu_kernelIffLi160ELi1280ELi8ELi1EEvPT_PKS0_,"axG",@progbits,_Z12geglu_kernelIffLi160ELi1280ELi8ELi1EEvPT_PKS0_,comdat
.Lfunc_end0:
	.size	_Z12geglu_kernelIffLi160ELi1280ELi8ELi1EEvPT_PKS0_, .Lfunc_end0-_Z12geglu_kernelIffLi160ELi1280ELi8ELi1EEvPT_PKS0_
                                        ; -- End function
	.section	.AMDGPU.csdata,"",@progbits
; Kernel info:
; codeLenInByte = 3088
; NumSgprs: 18
; NumVgprs: 36
; ScratchSize: 0
; MemoryBound: 0
; FloatMode: 240
; IeeeMode: 1
; LDSByteSize: 0 bytes/workgroup (compile time only)
; SGPRBlocks: 2
; VGPRBlocks: 4
; NumSGPRsForWavesPerEU: 18
; NumVGPRsForWavesPerEU: 36
; Occupancy: 16
; WaveLimiterHint : 0
; COMPUTE_PGM_RSRC2:SCRATCH_EN: 0
; COMPUTE_PGM_RSRC2:USER_SGPR: 15
; COMPUTE_PGM_RSRC2:TRAP_HANDLER: 0
; COMPUTE_PGM_RSRC2:TGID_X_EN: 1
; COMPUTE_PGM_RSRC2:TGID_Y_EN: 0
; COMPUTE_PGM_RSRC2:TGID_Z_EN: 0
; COMPUTE_PGM_RSRC2:TIDIG_COMP_CNT: 0
	.section	.text._Z12geglu_kernelIffLi160ELi2560ELi8ELi1EEvPT_PKS0_,"axG",@progbits,_Z12geglu_kernelIffLi160ELi2560ELi8ELi1EEvPT_PKS0_,comdat
	.protected	_Z12geglu_kernelIffLi160ELi2560ELi8ELi1EEvPT_PKS0_ ; -- Begin function _Z12geglu_kernelIffLi160ELi2560ELi8ELi1EEvPT_PKS0_
	.globl	_Z12geglu_kernelIffLi160ELi2560ELi8ELi1EEvPT_PKS0_
	.p2align	8
	.type	_Z12geglu_kernelIffLi160ELi2560ELi8ELi1EEvPT_PKS0_,@function
_Z12geglu_kernelIffLi160ELi2560ELi8ELi1EEvPT_PKS0_: ; @_Z12geglu_kernelIffLi160ELi2560ELi8ELi1EEvPT_PKS0_
; %bb.0:
	s_load_b128 s[0:3], s[0:1], 0x0
	s_and_b32 s4, s15, -2
	s_bitcmp1_b32 s15, 0
	s_mul_i32 s6, s4, 0x2800
	s_cselect_b32 s5, 0xa0, 0
                                        ; implicit-def: $vgpr17
	s_delay_alu instid0(SALU_CYCLE_1) | instskip(SKIP_1) | instid1(VALU_DEP_1)
	v_add_nc_u32_e32 v19, s5, v0
	s_mul_hi_u32 s5, s4, 0x2800
	v_lshlrev_b32_e32 v4, 5, v19
	s_waitcnt lgkmcnt(0)
	s_add_u32 s4, s2, s6
	s_addc_u32 s5, s3, s5
	s_or_b32 s6, s15, 1
	s_delay_alu instid0(SALU_CYCLE_1)
	s_mul_i32 s7, s6, 0x2800
	s_mul_hi_u32 s6, s6, 0x2800
	s_add_u32 s2, s2, s7
	s_addc_u32 s3, s3, s6
	s_clause 0x3
	global_load_b128 v[12:15], v4, s[2:3]
	global_load_b128 v[8:11], v4, s[2:3] offset:16
	global_load_b128 v[0:3], v4, s[4:5] offset:16
	global_load_b128 v[4:7], v4, s[4:5]
	s_waitcnt vmcnt(3)
	v_mul_f32_e32 v16, 0x3f3504f3, v12
	s_delay_alu instid0(VALU_DEP_1) | instskip(NEXT) | instid1(VALU_DEP_1)
	v_cmp_nlt_f32_e64 s2, |v16|, 1.0
	s_and_saveexec_b32 s3, s2
	s_delay_alu instid0(SALU_CYCLE_1)
	s_xor_b32 s2, exec_lo, s3
	s_cbranch_execz .LBB1_2
; %bb.1:
	s_mov_b32 s3, 0x378e98ab
	s_delay_alu instid0(SALU_CYCLE_1) | instskip(NEXT) | instid1(VALU_DEP_1)
	v_fma_f32 v17, |v16|, s3, 0xb9c68948
	v_fma_f32 v17, |v16|, v17, 0x3b7cd369
	s_delay_alu instid0(VALU_DEP_1) | instskip(NEXT) | instid1(VALU_DEP_1)
	v_fma_f32 v17, |v16|, v17, 0xbcc618b2
	v_fma_f32 v17, |v16|, v17, 0x3dda74e4
	s_delay_alu instid0(VALU_DEP_1) | instskip(NEXT) | instid1(VALU_DEP_1)
	;; [unrolled: 3-line block ×3, first 2 shown]
	v_fma_f32 v17, |v16|, v17, |v16|
	v_mul_f32_e32 v18, 0xbfb8aa3b, v17
	v_cmp_nlt_f32_e32 vcc_lo, 0x42ce8ed0, v17
	s_delay_alu instid0(VALU_DEP_2) | instskip(SKIP_1) | instid1(VALU_DEP_2)
	v_fma_f32 v20, 0xbfb8aa3b, v17, -v18
	v_rndne_f32_e32 v21, v18
	v_fmamk_f32 v20, v17, 0xb2a5705f, v20
	s_delay_alu instid0(VALU_DEP_2) | instskip(NEXT) | instid1(VALU_DEP_1)
	v_sub_f32_e32 v18, v18, v21
	v_add_f32_e32 v18, v18, v20
	v_cvt_i32_f32_e32 v20, v21
	s_delay_alu instid0(VALU_DEP_2) | instskip(SKIP_2) | instid1(VALU_DEP_1)
	v_exp_f32_e32 v18, v18
	s_waitcnt_depctr 0xfff
	v_ldexp_f32 v18, v18, v20
	v_cndmask_b32_e32 v18, 0, v18, vcc_lo
	v_cmp_ngt_f32_e32 vcc_lo, 0xc2b17218, v17
	s_delay_alu instid0(VALU_DEP_2) | instskip(NEXT) | instid1(VALU_DEP_1)
	v_cndmask_b32_e32 v17, 0x7f800000, v18, vcc_lo
	v_sub_f32_e32 v17, 1.0, v17
.LBB1_2:
	s_and_not1_saveexec_b32 s2, s2
; %bb.3:
	v_mul_f32_e32 v17, v16, v16
	s_mov_b32 s3, 0xba1345e1
	s_delay_alu instid0(VALU_DEP_1) | instid1(SALU_CYCLE_1)
	v_fmaak_f32 v18, s3, v17, 0x3ba10414
	s_delay_alu instid0(VALU_DEP_1) | instskip(NEXT) | instid1(VALU_DEP_1)
	v_fmaak_f32 v18, v17, v18, 0xbcdac9b8
	v_fmaak_f32 v18, v17, v18, 0x3de703be
	s_delay_alu instid0(VALU_DEP_1) | instskip(NEXT) | instid1(VALU_DEP_1)
	v_fmaak_f32 v18, v17, v18, 0xbec09330
	v_fmaak_f32 v17, v17, v18, 0x3e0375d0
	s_delay_alu instid0(VALU_DEP_1)
	v_fma_f32 v17, |v16|, v17, |v16|
; %bb.4:
	s_or_b32 exec_lo, exec_lo, s2
	v_mul_f32_e32 v18, 0x3f3504f3, v13
                                        ; implicit-def: $vgpr20
	s_delay_alu instid0(VALU_DEP_1) | instskip(NEXT) | instid1(VALU_DEP_1)
	v_cmp_nlt_f32_e64 s2, |v18|, 1.0
	s_and_saveexec_b32 s3, s2
	s_delay_alu instid0(SALU_CYCLE_1)
	s_xor_b32 s2, exec_lo, s3
	s_cbranch_execz .LBB1_6
; %bb.5:
	s_mov_b32 s3, 0x378e98ab
	s_delay_alu instid0(SALU_CYCLE_1) | instskip(NEXT) | instid1(VALU_DEP_1)
	v_fma_f32 v20, |v18|, s3, 0xb9c68948
	v_fma_f32 v20, |v18|, v20, 0x3b7cd369
	s_delay_alu instid0(VALU_DEP_1) | instskip(NEXT) | instid1(VALU_DEP_1)
	v_fma_f32 v20, |v18|, v20, 0xbcc618b2
	v_fma_f32 v20, |v18|, v20, 0x3dda74e4
	s_delay_alu instid0(VALU_DEP_1) | instskip(NEXT) | instid1(VALU_DEP_1)
	;; [unrolled: 3-line block ×3, first 2 shown]
	v_fma_f32 v20, |v18|, v20, |v18|
	v_mul_f32_e32 v21, 0xbfb8aa3b, v20
	v_cmp_nlt_f32_e32 vcc_lo, 0x42ce8ed0, v20
	s_delay_alu instid0(VALU_DEP_2) | instskip(SKIP_1) | instid1(VALU_DEP_1)
	v_fma_f32 v22, 0xbfb8aa3b, v20, -v21
	v_rndne_f32_e32 v23, v21
	v_dual_fmamk_f32 v22, v20, 0xb2a5705f, v22 :: v_dual_sub_f32 v21, v21, v23
	s_delay_alu instid0(VALU_DEP_1) | instskip(SKIP_1) | instid1(VALU_DEP_2)
	v_add_f32_e32 v21, v21, v22
	v_cvt_i32_f32_e32 v22, v23
	v_exp_f32_e32 v21, v21
	s_waitcnt_depctr 0xfff
	v_ldexp_f32 v21, v21, v22
	s_delay_alu instid0(VALU_DEP_1) | instskip(SKIP_1) | instid1(VALU_DEP_2)
	v_cndmask_b32_e32 v21, 0, v21, vcc_lo
	v_cmp_ngt_f32_e32 vcc_lo, 0xc2b17218, v20
	v_cndmask_b32_e32 v20, 0x7f800000, v21, vcc_lo
	s_delay_alu instid0(VALU_DEP_1)
	v_sub_f32_e32 v20, 1.0, v20
.LBB1_6:
	s_and_not1_saveexec_b32 s2, s2
; %bb.7:
	v_mul_f32_e32 v20, v18, v18
	s_mov_b32 s3, 0xba1345e1
	s_delay_alu instid0(VALU_DEP_1) | instid1(SALU_CYCLE_1)
	v_fmaak_f32 v21, s3, v20, 0x3ba10414
	s_delay_alu instid0(VALU_DEP_1) | instskip(NEXT) | instid1(VALU_DEP_1)
	v_fmaak_f32 v21, v20, v21, 0xbcdac9b8
	v_fmaak_f32 v21, v20, v21, 0x3de703be
	s_delay_alu instid0(VALU_DEP_1) | instskip(NEXT) | instid1(VALU_DEP_1)
	v_fmaak_f32 v21, v20, v21, 0xbec09330
	v_fmaak_f32 v20, v20, v21, 0x3e0375d0
	s_delay_alu instid0(VALU_DEP_1)
	v_fma_f32 v20, |v18|, v20, |v18|
; %bb.8:
	s_or_b32 exec_lo, exec_lo, s2
	v_mul_f32_e32 v21, 0x3f3504f3, v14
                                        ; implicit-def: $vgpr22
	s_delay_alu instid0(VALU_DEP_1) | instskip(NEXT) | instid1(VALU_DEP_1)
	v_cmp_nlt_f32_e64 s2, |v21|, 1.0
	s_and_saveexec_b32 s3, s2
	s_delay_alu instid0(SALU_CYCLE_1)
	s_xor_b32 s2, exec_lo, s3
	s_cbranch_execz .LBB1_10
; %bb.9:
	s_mov_b32 s3, 0x378e98ab
	s_delay_alu instid0(SALU_CYCLE_1) | instskip(NEXT) | instid1(VALU_DEP_1)
	v_fma_f32 v22, |v21|, s3, 0xb9c68948
	v_fma_f32 v22, |v21|, v22, 0x3b7cd369
	s_delay_alu instid0(VALU_DEP_1) | instskip(NEXT) | instid1(VALU_DEP_1)
	v_fma_f32 v22, |v21|, v22, 0xbcc618b2
	v_fma_f32 v22, |v21|, v22, 0x3dda74e4
	s_delay_alu instid0(VALU_DEP_1) | instskip(NEXT) | instid1(VALU_DEP_1)
	;; [unrolled: 3-line block ×3, first 2 shown]
	v_fma_f32 v22, |v21|, v22, |v21|
	v_mul_f32_e32 v23, 0xbfb8aa3b, v22
	v_cmp_nlt_f32_e32 vcc_lo, 0x42ce8ed0, v22
	s_delay_alu instid0(VALU_DEP_2) | instskip(SKIP_1) | instid1(VALU_DEP_1)
	v_fma_f32 v24, 0xbfb8aa3b, v22, -v23
	v_rndne_f32_e32 v25, v23
	v_dual_fmamk_f32 v24, v22, 0xb2a5705f, v24 :: v_dual_sub_f32 v23, v23, v25
	s_delay_alu instid0(VALU_DEP_1) | instskip(SKIP_1) | instid1(VALU_DEP_2)
	v_add_f32_e32 v23, v23, v24
	v_cvt_i32_f32_e32 v24, v25
	v_exp_f32_e32 v23, v23
	s_waitcnt_depctr 0xfff
	v_ldexp_f32 v23, v23, v24
	s_delay_alu instid0(VALU_DEP_1) | instskip(SKIP_1) | instid1(VALU_DEP_2)
	v_cndmask_b32_e32 v23, 0, v23, vcc_lo
	v_cmp_ngt_f32_e32 vcc_lo, 0xc2b17218, v22
	v_cndmask_b32_e32 v22, 0x7f800000, v23, vcc_lo
	s_delay_alu instid0(VALU_DEP_1)
	v_sub_f32_e32 v22, 1.0, v22
.LBB1_10:
	s_and_not1_saveexec_b32 s2, s2
; %bb.11:
	v_mul_f32_e32 v22, v21, v21
	s_mov_b32 s3, 0xba1345e1
	s_delay_alu instid0(VALU_DEP_1) | instid1(SALU_CYCLE_1)
	v_fmaak_f32 v23, s3, v22, 0x3ba10414
	s_delay_alu instid0(VALU_DEP_1) | instskip(NEXT) | instid1(VALU_DEP_1)
	v_fmaak_f32 v23, v22, v23, 0xbcdac9b8
	v_fmaak_f32 v23, v22, v23, 0x3de703be
	s_delay_alu instid0(VALU_DEP_1) | instskip(NEXT) | instid1(VALU_DEP_1)
	v_fmaak_f32 v23, v22, v23, 0xbec09330
	v_fmaak_f32 v22, v22, v23, 0x3e0375d0
	s_delay_alu instid0(VALU_DEP_1)
	v_fma_f32 v22, |v21|, v22, |v21|
; %bb.12:
	s_or_b32 exec_lo, exec_lo, s2
	v_mul_f32_e32 v23, 0x3f3504f3, v15
                                        ; implicit-def: $vgpr24
	s_delay_alu instid0(VALU_DEP_1) | instskip(NEXT) | instid1(VALU_DEP_1)
	v_cmp_nlt_f32_e64 s2, |v23|, 1.0
	s_and_saveexec_b32 s3, s2
	s_delay_alu instid0(SALU_CYCLE_1)
	s_xor_b32 s2, exec_lo, s3
	s_cbranch_execz .LBB1_14
; %bb.13:
	s_mov_b32 s3, 0x378e98ab
	s_delay_alu instid0(SALU_CYCLE_1) | instskip(NEXT) | instid1(VALU_DEP_1)
	v_fma_f32 v24, |v23|, s3, 0xb9c68948
	v_fma_f32 v24, |v23|, v24, 0x3b7cd369
	s_delay_alu instid0(VALU_DEP_1) | instskip(NEXT) | instid1(VALU_DEP_1)
	v_fma_f32 v24, |v23|, v24, 0xbcc618b2
	v_fma_f32 v24, |v23|, v24, 0x3dda74e4
	s_delay_alu instid0(VALU_DEP_1) | instskip(NEXT) | instid1(VALU_DEP_1)
	;; [unrolled: 3-line block ×3, first 2 shown]
	v_fma_f32 v24, |v23|, v24, |v23|
	v_mul_f32_e32 v25, 0xbfb8aa3b, v24
	v_cmp_nlt_f32_e32 vcc_lo, 0x42ce8ed0, v24
	s_delay_alu instid0(VALU_DEP_2) | instskip(SKIP_1) | instid1(VALU_DEP_1)
	v_fma_f32 v26, 0xbfb8aa3b, v24, -v25
	v_rndne_f32_e32 v27, v25
	v_dual_fmamk_f32 v26, v24, 0xb2a5705f, v26 :: v_dual_sub_f32 v25, v25, v27
	s_delay_alu instid0(VALU_DEP_1) | instskip(SKIP_1) | instid1(VALU_DEP_2)
	v_add_f32_e32 v25, v25, v26
	v_cvt_i32_f32_e32 v26, v27
	v_exp_f32_e32 v25, v25
	s_waitcnt_depctr 0xfff
	v_ldexp_f32 v25, v25, v26
	s_delay_alu instid0(VALU_DEP_1) | instskip(SKIP_1) | instid1(VALU_DEP_2)
	v_cndmask_b32_e32 v25, 0, v25, vcc_lo
	v_cmp_ngt_f32_e32 vcc_lo, 0xc2b17218, v24
	v_cndmask_b32_e32 v24, 0x7f800000, v25, vcc_lo
	s_delay_alu instid0(VALU_DEP_1)
	v_sub_f32_e32 v24, 1.0, v24
.LBB1_14:
	s_and_not1_saveexec_b32 s2, s2
; %bb.15:
	v_mul_f32_e32 v24, v23, v23
	s_mov_b32 s3, 0xba1345e1
	s_delay_alu instid0(VALU_DEP_1) | instid1(SALU_CYCLE_1)
	v_fmaak_f32 v25, s3, v24, 0x3ba10414
	s_delay_alu instid0(VALU_DEP_1) | instskip(NEXT) | instid1(VALU_DEP_1)
	v_fmaak_f32 v25, v24, v25, 0xbcdac9b8
	v_fmaak_f32 v25, v24, v25, 0x3de703be
	s_delay_alu instid0(VALU_DEP_1) | instskip(NEXT) | instid1(VALU_DEP_1)
	v_fmaak_f32 v25, v24, v25, 0xbec09330
	v_fmaak_f32 v24, v24, v25, 0x3e0375d0
	s_delay_alu instid0(VALU_DEP_1)
	v_fma_f32 v24, |v23|, v24, |v23|
; %bb.16:
	s_or_b32 exec_lo, exec_lo, s2
	s_waitcnt vmcnt(2)
	v_mul_f32_e32 v25, 0x3f3504f3, v8
                                        ; implicit-def: $vgpr26
	s_delay_alu instid0(VALU_DEP_1) | instskip(NEXT) | instid1(VALU_DEP_1)
	v_cmp_nlt_f32_e64 s2, |v25|, 1.0
	s_and_saveexec_b32 s3, s2
	s_delay_alu instid0(SALU_CYCLE_1)
	s_xor_b32 s2, exec_lo, s3
	s_cbranch_execz .LBB1_18
; %bb.17:
	s_mov_b32 s3, 0x378e98ab
	s_delay_alu instid0(SALU_CYCLE_1) | instskip(NEXT) | instid1(VALU_DEP_1)
	v_fma_f32 v26, |v25|, s3, 0xb9c68948
	v_fma_f32 v26, |v25|, v26, 0x3b7cd369
	s_delay_alu instid0(VALU_DEP_1) | instskip(NEXT) | instid1(VALU_DEP_1)
	v_fma_f32 v26, |v25|, v26, 0xbcc618b2
	v_fma_f32 v26, |v25|, v26, 0x3dda74e4
	s_delay_alu instid0(VALU_DEP_1) | instskip(NEXT) | instid1(VALU_DEP_1)
	;; [unrolled: 3-line block ×3, first 2 shown]
	v_fma_f32 v26, |v25|, v26, |v25|
	v_mul_f32_e32 v27, 0xbfb8aa3b, v26
	v_cmp_nlt_f32_e32 vcc_lo, 0x42ce8ed0, v26
	s_delay_alu instid0(VALU_DEP_2) | instskip(SKIP_1) | instid1(VALU_DEP_1)
	v_fma_f32 v28, 0xbfb8aa3b, v26, -v27
	v_rndne_f32_e32 v29, v27
	v_dual_fmamk_f32 v28, v26, 0xb2a5705f, v28 :: v_dual_sub_f32 v27, v27, v29
	s_delay_alu instid0(VALU_DEP_1) | instskip(SKIP_1) | instid1(VALU_DEP_2)
	v_add_f32_e32 v27, v27, v28
	v_cvt_i32_f32_e32 v28, v29
	v_exp_f32_e32 v27, v27
	s_waitcnt_depctr 0xfff
	v_ldexp_f32 v27, v27, v28
	s_delay_alu instid0(VALU_DEP_1) | instskip(SKIP_1) | instid1(VALU_DEP_2)
	v_cndmask_b32_e32 v27, 0, v27, vcc_lo
	v_cmp_ngt_f32_e32 vcc_lo, 0xc2b17218, v26
	v_cndmask_b32_e32 v26, 0x7f800000, v27, vcc_lo
	s_delay_alu instid0(VALU_DEP_1)
	v_sub_f32_e32 v26, 1.0, v26
.LBB1_18:
	s_and_not1_saveexec_b32 s2, s2
; %bb.19:
	v_mul_f32_e32 v26, v25, v25
	s_mov_b32 s3, 0xba1345e1
	s_delay_alu instid0(VALU_DEP_1) | instid1(SALU_CYCLE_1)
	v_fmaak_f32 v27, s3, v26, 0x3ba10414
	s_delay_alu instid0(VALU_DEP_1) | instskip(NEXT) | instid1(VALU_DEP_1)
	v_fmaak_f32 v27, v26, v27, 0xbcdac9b8
	v_fmaak_f32 v27, v26, v27, 0x3de703be
	s_delay_alu instid0(VALU_DEP_1) | instskip(NEXT) | instid1(VALU_DEP_1)
	v_fmaak_f32 v27, v26, v27, 0xbec09330
	v_fmaak_f32 v26, v26, v27, 0x3e0375d0
	s_delay_alu instid0(VALU_DEP_1)
	v_fma_f32 v26, |v25|, v26, |v25|
; %bb.20:
	s_or_b32 exec_lo, exec_lo, s2
	v_mul_f32_e32 v27, 0x3f3504f3, v9
                                        ; implicit-def: $vgpr28
	s_delay_alu instid0(VALU_DEP_1) | instskip(NEXT) | instid1(VALU_DEP_1)
	v_cmp_nlt_f32_e64 s2, |v27|, 1.0
	s_and_saveexec_b32 s3, s2
	s_delay_alu instid0(SALU_CYCLE_1)
	s_xor_b32 s2, exec_lo, s3
	s_cbranch_execz .LBB1_22
; %bb.21:
	s_mov_b32 s3, 0x378e98ab
	s_delay_alu instid0(SALU_CYCLE_1) | instskip(NEXT) | instid1(VALU_DEP_1)
	v_fma_f32 v28, |v27|, s3, 0xb9c68948
	v_fma_f32 v28, |v27|, v28, 0x3b7cd369
	s_delay_alu instid0(VALU_DEP_1) | instskip(NEXT) | instid1(VALU_DEP_1)
	v_fma_f32 v28, |v27|, v28, 0xbcc618b2
	v_fma_f32 v28, |v27|, v28, 0x3dda74e4
	s_delay_alu instid0(VALU_DEP_1) | instskip(NEXT) | instid1(VALU_DEP_1)
	;; [unrolled: 3-line block ×3, first 2 shown]
	v_fma_f32 v28, |v27|, v28, |v27|
	v_mul_f32_e32 v29, 0xbfb8aa3b, v28
	v_cmp_nlt_f32_e32 vcc_lo, 0x42ce8ed0, v28
	s_delay_alu instid0(VALU_DEP_2) | instskip(SKIP_1) | instid1(VALU_DEP_1)
	v_fma_f32 v30, 0xbfb8aa3b, v28, -v29
	v_rndne_f32_e32 v31, v29
	v_dual_fmamk_f32 v30, v28, 0xb2a5705f, v30 :: v_dual_sub_f32 v29, v29, v31
	s_delay_alu instid0(VALU_DEP_1) | instskip(SKIP_1) | instid1(VALU_DEP_2)
	v_add_f32_e32 v29, v29, v30
	v_cvt_i32_f32_e32 v30, v31
	v_exp_f32_e32 v29, v29
	s_waitcnt_depctr 0xfff
	v_ldexp_f32 v29, v29, v30
	s_delay_alu instid0(VALU_DEP_1) | instskip(SKIP_1) | instid1(VALU_DEP_2)
	v_cndmask_b32_e32 v29, 0, v29, vcc_lo
	v_cmp_ngt_f32_e32 vcc_lo, 0xc2b17218, v28
	v_cndmask_b32_e32 v28, 0x7f800000, v29, vcc_lo
	s_delay_alu instid0(VALU_DEP_1)
	v_sub_f32_e32 v28, 1.0, v28
.LBB1_22:
	s_and_not1_saveexec_b32 s2, s2
; %bb.23:
	v_mul_f32_e32 v28, v27, v27
	s_mov_b32 s3, 0xba1345e1
	s_delay_alu instid0(VALU_DEP_1) | instid1(SALU_CYCLE_1)
	v_fmaak_f32 v29, s3, v28, 0x3ba10414
	s_delay_alu instid0(VALU_DEP_1) | instskip(NEXT) | instid1(VALU_DEP_1)
	v_fmaak_f32 v29, v28, v29, 0xbcdac9b8
	v_fmaak_f32 v29, v28, v29, 0x3de703be
	s_delay_alu instid0(VALU_DEP_1) | instskip(NEXT) | instid1(VALU_DEP_1)
	v_fmaak_f32 v29, v28, v29, 0xbec09330
	v_fmaak_f32 v28, v28, v29, 0x3e0375d0
	s_delay_alu instid0(VALU_DEP_1)
	v_fma_f32 v28, |v27|, v28, |v27|
; %bb.24:
	s_or_b32 exec_lo, exec_lo, s2
	v_mul_f32_e32 v29, 0x3f3504f3, v10
                                        ; implicit-def: $vgpr31
	s_delay_alu instid0(VALU_DEP_1) | instskip(NEXT) | instid1(VALU_DEP_1)
	v_cmp_nlt_f32_e64 s2, |v29|, 1.0
	s_and_saveexec_b32 s3, s2
	s_delay_alu instid0(SALU_CYCLE_1)
	s_xor_b32 s2, exec_lo, s3
	s_cbranch_execz .LBB1_26
; %bb.25:
	s_mov_b32 s3, 0x378e98ab
	s_delay_alu instid0(SALU_CYCLE_1) | instskip(NEXT) | instid1(VALU_DEP_1)
	v_fma_f32 v30, |v29|, s3, 0xb9c68948
	v_fma_f32 v30, |v29|, v30, 0x3b7cd369
	s_delay_alu instid0(VALU_DEP_1) | instskip(NEXT) | instid1(VALU_DEP_1)
	v_fma_f32 v30, |v29|, v30, 0xbcc618b2
	v_fma_f32 v30, |v29|, v30, 0x3dda74e4
	s_delay_alu instid0(VALU_DEP_1) | instskip(NEXT) | instid1(VALU_DEP_1)
	;; [unrolled: 3-line block ×3, first 2 shown]
	v_fma_f32 v30, |v29|, v30, |v29|
	v_mul_f32_e32 v31, 0xbfb8aa3b, v30
	v_cmp_nlt_f32_e32 vcc_lo, 0x42ce8ed0, v30
	s_delay_alu instid0(VALU_DEP_2) | instskip(SKIP_1) | instid1(VALU_DEP_1)
	v_fma_f32 v32, 0xbfb8aa3b, v30, -v31
	v_rndne_f32_e32 v33, v31
	v_dual_fmamk_f32 v32, v30, 0xb2a5705f, v32 :: v_dual_sub_f32 v31, v31, v33
	s_delay_alu instid0(VALU_DEP_1) | instskip(SKIP_1) | instid1(VALU_DEP_2)
	v_add_f32_e32 v31, v31, v32
	v_cvt_i32_f32_e32 v32, v33
	v_exp_f32_e32 v31, v31
	s_waitcnt_depctr 0xfff
	v_ldexp_f32 v31, v31, v32
	s_delay_alu instid0(VALU_DEP_1) | instskip(SKIP_1) | instid1(VALU_DEP_2)
	v_cndmask_b32_e32 v31, 0, v31, vcc_lo
	v_cmp_ngt_f32_e32 vcc_lo, 0xc2b17218, v30
	v_cndmask_b32_e32 v30, 0x7f800000, v31, vcc_lo
	s_delay_alu instid0(VALU_DEP_1)
	v_sub_f32_e32 v31, 1.0, v30
.LBB1_26:
	s_and_not1_saveexec_b32 s2, s2
; %bb.27:
	v_mul_f32_e32 v30, v29, v29
	s_mov_b32 s3, 0xba1345e1
	s_delay_alu instid0(VALU_DEP_1) | instid1(SALU_CYCLE_1)
	v_fmaak_f32 v31, s3, v30, 0x3ba10414
	s_delay_alu instid0(VALU_DEP_1) | instskip(NEXT) | instid1(VALU_DEP_1)
	v_fmaak_f32 v31, v30, v31, 0xbcdac9b8
	v_fmaak_f32 v31, v30, v31, 0x3de703be
	s_delay_alu instid0(VALU_DEP_1) | instskip(NEXT) | instid1(VALU_DEP_1)
	v_fmaak_f32 v31, v30, v31, 0xbec09330
	v_fmaak_f32 v30, v30, v31, 0x3e0375d0
	s_delay_alu instid0(VALU_DEP_1)
	v_fma_f32 v31, |v29|, v30, |v29|
; %bb.28:
	s_or_b32 exec_lo, exec_lo, s2
	v_mul_f32_e32 v30, 0x3f3504f3, v11
	v_lshlrev_b32_e32 v19, 3, v19
                                        ; implicit-def: $vgpr32
	s_delay_alu instid0(VALU_DEP_2) | instskip(NEXT) | instid1(VALU_DEP_1)
	v_cmp_nlt_f32_e64 s2, |v30|, 1.0
	s_and_saveexec_b32 s3, s2
	s_delay_alu instid0(SALU_CYCLE_1)
	s_xor_b32 s2, exec_lo, s3
	s_cbranch_execz .LBB1_30
; %bb.29:
	s_mov_b32 s3, 0x378e98ab
	s_delay_alu instid0(SALU_CYCLE_1) | instskip(NEXT) | instid1(VALU_DEP_1)
	v_fma_f32 v32, |v30|, s3, 0xb9c68948
	v_fma_f32 v32, |v30|, v32, 0x3b7cd369
	s_delay_alu instid0(VALU_DEP_1) | instskip(NEXT) | instid1(VALU_DEP_1)
	v_fma_f32 v32, |v30|, v32, 0xbcc618b2
	v_fma_f32 v32, |v30|, v32, 0x3dda74e4
	s_delay_alu instid0(VALU_DEP_1) | instskip(NEXT) | instid1(VALU_DEP_1)
	;; [unrolled: 3-line block ×3, first 2 shown]
	v_fma_f32 v32, |v30|, v32, |v30|
	v_mul_f32_e32 v33, 0xbfb8aa3b, v32
	v_cmp_nlt_f32_e32 vcc_lo, 0x42ce8ed0, v32
	s_delay_alu instid0(VALU_DEP_2) | instskip(SKIP_1) | instid1(VALU_DEP_1)
	v_fma_f32 v34, 0xbfb8aa3b, v32, -v33
	v_rndne_f32_e32 v35, v33
	v_dual_fmamk_f32 v34, v32, 0xb2a5705f, v34 :: v_dual_sub_f32 v33, v33, v35
	s_delay_alu instid0(VALU_DEP_1) | instskip(SKIP_1) | instid1(VALU_DEP_2)
	v_add_f32_e32 v33, v33, v34
	v_cvt_i32_f32_e32 v34, v35
	v_exp_f32_e32 v33, v33
	s_waitcnt_depctr 0xfff
	v_ldexp_f32 v33, v33, v34
	s_delay_alu instid0(VALU_DEP_1) | instskip(SKIP_1) | instid1(VALU_DEP_2)
	v_cndmask_b32_e32 v33, 0, v33, vcc_lo
	v_cmp_ngt_f32_e32 vcc_lo, 0xc2b17218, v32
	v_cndmask_b32_e32 v32, 0x7f800000, v33, vcc_lo
	s_delay_alu instid0(VALU_DEP_1)
	v_sub_f32_e32 v32, 1.0, v32
.LBB1_30:
	s_and_not1_saveexec_b32 s2, s2
; %bb.31:
	v_mul_f32_e32 v32, v30, v30
	s_mov_b32 s3, 0xba1345e1
	s_delay_alu instid0(VALU_DEP_1) | instid1(SALU_CYCLE_1)
	v_fmaak_f32 v33, s3, v32, 0x3ba10414
	s_delay_alu instid0(VALU_DEP_1) | instskip(NEXT) | instid1(VALU_DEP_1)
	v_fmaak_f32 v33, v32, v33, 0xbcdac9b8
	v_fmaak_f32 v33, v32, v33, 0x3de703be
	s_delay_alu instid0(VALU_DEP_1) | instskip(NEXT) | instid1(VALU_DEP_1)
	v_fmaak_f32 v33, v32, v33, 0xbec09330
	v_fmaak_f32 v32, v32, v33, 0x3e0375d0
	s_delay_alu instid0(VALU_DEP_1)
	v_fma_f32 v32, |v30|, v32, |v30|
; %bb.32:
	s_or_b32 exec_lo, exec_lo, s2
	v_bfi_b32 v29, 0x7fffffff, v31, v29
	v_bfi_b32 v27, 0x7fffffff, v28, v27
	;; [unrolled: 1-line block ×3, first 2 shown]
	v_dual_mul_f32 v10, 0.5, v10 :: v_dual_mul_f32 v9, 0.5, v9
	s_delay_alu instid0(VALU_DEP_3) | instskip(NEXT) | instid1(VALU_DEP_3)
	v_dual_add_f32 v26, 1.0, v29 :: v_dual_add_f32 v27, 1.0, v27
	v_dual_mul_f32 v8, 0.5, v8 :: v_dual_add_f32 v25, 1.0, v25
	v_bfi_b32 v23, 0x7fffffff, v24, v23
	s_delay_alu instid0(VALU_DEP_3) | instskip(NEXT) | instid1(VALU_DEP_3)
	v_dual_mul_f32 v10, v10, v26 :: v_dual_mul_f32 v9, v9, v27
	v_dual_mul_f32 v15, 0.5, v15 :: v_dual_mul_f32 v8, v8, v25
	s_waitcnt vmcnt(1)
	s_delay_alu instid0(VALU_DEP_2) | instskip(NEXT) | instid1(VALU_DEP_3)
	v_dual_add_f32 v23, 1.0, v23 :: v_dual_mul_f32 v2, v2, v10
	v_mul_f32_e32 v1, v1, v9
	v_bfi_b32 v9, 0x7fffffff, v22, v21
	v_mul_f32_e32 v0, v0, v8
	s_delay_alu instid0(VALU_DEP_4)
	v_mul_f32_e32 v8, v15, v23
	v_dual_mul_f32 v10, 0.5, v14 :: v_dual_mul_f32 v13, 0.5, v13
	v_bfi_b32 v14, 0x7fffffff, v20, v18
	v_bfi_b32 v15, 0x7fffffff, v17, v16
	;; [unrolled: 1-line block ×3, first 2 shown]
	v_dual_add_f32 v9, 1.0, v9 :: v_dual_mul_f32 v12, 0.5, v12
	s_delay_alu instid0(VALU_DEP_4) | instskip(NEXT) | instid1(VALU_DEP_3)
	v_dual_mul_f32 v11, 0.5, v11 :: v_dual_add_f32 v14, 1.0, v14
	v_dual_add_f32 v15, 1.0, v15 :: v_dual_add_f32 v16, 1.0, v16
	s_delay_alu instid0(VALU_DEP_3) | instskip(SKIP_1) | instid1(VALU_DEP_3)
	v_mul_f32_e32 v9, v10, v9
	s_waitcnt vmcnt(0)
	v_dual_mul_f32 v7, v7, v8 :: v_dual_mul_f32 v10, v13, v14
	s_delay_alu instid0(VALU_DEP_3) | instskip(SKIP_2) | instid1(VALU_DEP_3)
	v_mul_f32_e32 v12, v12, v15
	v_mul_f32_e32 v8, v11, v16
	s_lshr_b32 s2, s15, 1
	v_dual_mul_f32 v6, v6, v9 :: v_dual_mul_f32 v5, v5, v10
	s_delay_alu instid0(VALU_DEP_3) | instskip(NEXT) | instid1(VALU_DEP_3)
	v_mul_f32_e32 v4, v4, v12
	v_mul_f32_e32 v3, v3, v8
	s_mul_i32 s3, s2, 0x2800
	v_lshlrev_b32_e32 v8, 2, v19
	s_mul_hi_u32 s2, s2, 0x2800
	s_add_u32 s0, s0, s3
	s_addc_u32 s1, s1, s2
	s_clause 0x1
	global_store_b128 v8, v[4:7], s[0:1]
	global_store_b128 v8, v[0:3], s[0:1] offset:16
	s_nop 0
	s_sendmsg sendmsg(MSG_DEALLOC_VGPRS)
	s_endpgm
	.section	.rodata,"a",@progbits
	.p2align	6, 0x0
	.amdhsa_kernel _Z12geglu_kernelIffLi160ELi2560ELi8ELi1EEvPT_PKS0_
		.amdhsa_group_segment_fixed_size 0
		.amdhsa_private_segment_fixed_size 0
		.amdhsa_kernarg_size 16
		.amdhsa_user_sgpr_count 15
		.amdhsa_user_sgpr_dispatch_ptr 0
		.amdhsa_user_sgpr_queue_ptr 0
		.amdhsa_user_sgpr_kernarg_segment_ptr 1
		.amdhsa_user_sgpr_dispatch_id 0
		.amdhsa_user_sgpr_private_segment_size 0
		.amdhsa_wavefront_size32 1
		.amdhsa_uses_dynamic_stack 0
		.amdhsa_enable_private_segment 0
		.amdhsa_system_sgpr_workgroup_id_x 1
		.amdhsa_system_sgpr_workgroup_id_y 0
		.amdhsa_system_sgpr_workgroup_id_z 0
		.amdhsa_system_sgpr_workgroup_info 0
		.amdhsa_system_vgpr_workitem_id 0
		.amdhsa_next_free_vgpr 36
		.amdhsa_next_free_sgpr 16
		.amdhsa_reserve_vcc 1
		.amdhsa_float_round_mode_32 0
		.amdhsa_float_round_mode_16_64 0
		.amdhsa_float_denorm_mode_32 3
		.amdhsa_float_denorm_mode_16_64 3
		.amdhsa_dx10_clamp 1
		.amdhsa_ieee_mode 1
		.amdhsa_fp16_overflow 0
		.amdhsa_workgroup_processor_mode 1
		.amdhsa_memory_ordered 1
		.amdhsa_forward_progress 0
		.amdhsa_shared_vgpr_count 0
		.amdhsa_exception_fp_ieee_invalid_op 0
		.amdhsa_exception_fp_denorm_src 0
		.amdhsa_exception_fp_ieee_div_zero 0
		.amdhsa_exception_fp_ieee_overflow 0
		.amdhsa_exception_fp_ieee_underflow 0
		.amdhsa_exception_fp_ieee_inexact 0
		.amdhsa_exception_int_div_zero 0
	.end_amdhsa_kernel
	.section	.text._Z12geglu_kernelIffLi160ELi2560ELi8ELi1EEvPT_PKS0_,"axG",@progbits,_Z12geglu_kernelIffLi160ELi2560ELi8ELi1EEvPT_PKS0_,comdat
.Lfunc_end1:
	.size	_Z12geglu_kernelIffLi160ELi2560ELi8ELi1EEvPT_PKS0_, .Lfunc_end1-_Z12geglu_kernelIffLi160ELi2560ELi8ELi1EEvPT_PKS0_
                                        ; -- End function
	.section	.AMDGPU.csdata,"",@progbits
; Kernel info:
; codeLenInByte = 3128
; NumSgprs: 18
; NumVgprs: 36
; ScratchSize: 0
; MemoryBound: 0
; FloatMode: 240
; IeeeMode: 1
; LDSByteSize: 0 bytes/workgroup (compile time only)
; SGPRBlocks: 2
; VGPRBlocks: 4
; NumSGPRsForWavesPerEU: 18
; NumVGPRsForWavesPerEU: 36
; Occupancy: 16
; WaveLimiterHint : 0
; COMPUTE_PGM_RSRC2:SCRATCH_EN: 0
; COMPUTE_PGM_RSRC2:USER_SGPR: 15
; COMPUTE_PGM_RSRC2:TRAP_HANDLER: 0
; COMPUTE_PGM_RSRC2:TGID_X_EN: 1
; COMPUTE_PGM_RSRC2:TGID_Y_EN: 0
; COMPUTE_PGM_RSRC2:TGID_Z_EN: 0
; COMPUTE_PGM_RSRC2:TIDIG_COMP_CNT: 0
	.section	.text._Z12geglu_kernelIffLi160ELi5120ELi8ELi1EEvPT_PKS0_,"axG",@progbits,_Z12geglu_kernelIffLi160ELi5120ELi8ELi1EEvPT_PKS0_,comdat
	.protected	_Z12geglu_kernelIffLi160ELi5120ELi8ELi1EEvPT_PKS0_ ; -- Begin function _Z12geglu_kernelIffLi160ELi5120ELi8ELi1EEvPT_PKS0_
	.globl	_Z12geglu_kernelIffLi160ELi5120ELi8ELi1EEvPT_PKS0_
	.p2align	8
	.type	_Z12geglu_kernelIffLi160ELi5120ELi8ELi1EEvPT_PKS0_,@function
_Z12geglu_kernelIffLi160ELi5120ELi8ELi1EEvPT_PKS0_: ; @_Z12geglu_kernelIffLi160ELi5120ELi8ELi1EEvPT_PKS0_
; %bb.0:
	s_load_b128 s[0:3], s[0:1], 0x0
	s_and_b32 s4, s15, 3
	s_lshr_b32 s6, s15, 1
	v_mad_u64_u32 v[16:17], null, 0xa0, s4, v[0:1]
	s_and_b32 s4, s6, 0x7ffffffe
                                        ; implicit-def: $vgpr18
	s_delay_alu instid0(SALU_CYCLE_1) | instskip(SKIP_1) | instid1(VALU_DEP_1)
	s_mul_i32 s5, s4, 0x5000
	s_mul_hi_u32 s7, s4, 0x5000
	v_lshlrev_b32_e32 v4, 5, v16
	s_waitcnt lgkmcnt(0)
	s_add_u32 s4, s2, s5
	s_addc_u32 s5, s3, s7
	s_or_b32 s6, s6, 1
	s_delay_alu instid0(SALU_CYCLE_1)
	s_mul_i32 s7, s6, 0x5000
	s_mul_hi_u32 s6, s6, 0x5000
	s_add_u32 s2, s2, s7
	s_addc_u32 s3, s3, s6
	s_clause 0x3
	global_load_b128 v[12:15], v4, s[2:3]
	global_load_b128 v[8:11], v4, s[2:3] offset:16
	global_load_b128 v[0:3], v4, s[4:5] offset:16
	global_load_b128 v[4:7], v4, s[4:5]
	s_waitcnt vmcnt(3)
	v_mul_f32_e32 v17, 0x3f3504f3, v12
	s_delay_alu instid0(VALU_DEP_1) | instskip(NEXT) | instid1(VALU_DEP_1)
	v_cmp_nlt_f32_e64 s2, |v17|, 1.0
	s_and_saveexec_b32 s3, s2
	s_delay_alu instid0(SALU_CYCLE_1)
	s_xor_b32 s2, exec_lo, s3
	s_cbranch_execz .LBB2_2
; %bb.1:
	s_mov_b32 s3, 0x378e98ab
	s_delay_alu instid0(SALU_CYCLE_1) | instskip(NEXT) | instid1(VALU_DEP_1)
	v_fma_f32 v18, |v17|, s3, 0xb9c68948
	v_fma_f32 v18, |v17|, v18, 0x3b7cd369
	s_delay_alu instid0(VALU_DEP_1) | instskip(NEXT) | instid1(VALU_DEP_1)
	v_fma_f32 v18, |v17|, v18, 0xbcc618b2
	v_fma_f32 v18, |v17|, v18, 0x3dda74e4
	s_delay_alu instid0(VALU_DEP_1) | instskip(NEXT) | instid1(VALU_DEP_1)
	;; [unrolled: 3-line block ×3, first 2 shown]
	v_fma_f32 v18, |v17|, v18, |v17|
	v_mul_f32_e32 v19, 0xbfb8aa3b, v18
	v_cmp_nlt_f32_e32 vcc_lo, 0x42ce8ed0, v18
	s_delay_alu instid0(VALU_DEP_2) | instskip(SKIP_1) | instid1(VALU_DEP_1)
	v_fma_f32 v20, 0xbfb8aa3b, v18, -v19
	v_rndne_f32_e32 v21, v19
	v_dual_fmamk_f32 v20, v18, 0xb2a5705f, v20 :: v_dual_sub_f32 v19, v19, v21
	s_delay_alu instid0(VALU_DEP_1) | instskip(SKIP_1) | instid1(VALU_DEP_2)
	v_add_f32_e32 v19, v19, v20
	v_cvt_i32_f32_e32 v20, v21
	v_exp_f32_e32 v19, v19
	s_waitcnt_depctr 0xfff
	v_ldexp_f32 v19, v19, v20
	s_delay_alu instid0(VALU_DEP_1) | instskip(SKIP_1) | instid1(VALU_DEP_2)
	v_cndmask_b32_e32 v19, 0, v19, vcc_lo
	v_cmp_ngt_f32_e32 vcc_lo, 0xc2b17218, v18
	v_cndmask_b32_e32 v18, 0x7f800000, v19, vcc_lo
	s_delay_alu instid0(VALU_DEP_1)
	v_sub_f32_e32 v18, 1.0, v18
.LBB2_2:
	s_and_not1_saveexec_b32 s2, s2
; %bb.3:
	v_mul_f32_e32 v18, v17, v17
	s_mov_b32 s3, 0xba1345e1
	s_delay_alu instid0(VALU_DEP_1) | instid1(SALU_CYCLE_1)
	v_fmaak_f32 v19, s3, v18, 0x3ba10414
	s_delay_alu instid0(VALU_DEP_1) | instskip(NEXT) | instid1(VALU_DEP_1)
	v_fmaak_f32 v19, v18, v19, 0xbcdac9b8
	v_fmaak_f32 v19, v18, v19, 0x3de703be
	s_delay_alu instid0(VALU_DEP_1) | instskip(NEXT) | instid1(VALU_DEP_1)
	v_fmaak_f32 v19, v18, v19, 0xbec09330
	v_fmaak_f32 v18, v18, v19, 0x3e0375d0
	s_delay_alu instid0(VALU_DEP_1)
	v_fma_f32 v18, |v17|, v18, |v17|
; %bb.4:
	s_or_b32 exec_lo, exec_lo, s2
	v_mul_f32_e32 v19, 0x3f3504f3, v13
                                        ; implicit-def: $vgpr20
	s_delay_alu instid0(VALU_DEP_1) | instskip(NEXT) | instid1(VALU_DEP_1)
	v_cmp_nlt_f32_e64 s2, |v19|, 1.0
	s_and_saveexec_b32 s3, s2
	s_delay_alu instid0(SALU_CYCLE_1)
	s_xor_b32 s2, exec_lo, s3
	s_cbranch_execz .LBB2_6
; %bb.5:
	s_mov_b32 s3, 0x378e98ab
	s_delay_alu instid0(SALU_CYCLE_1) | instskip(NEXT) | instid1(VALU_DEP_1)
	v_fma_f32 v20, |v19|, s3, 0xb9c68948
	v_fma_f32 v20, |v19|, v20, 0x3b7cd369
	s_delay_alu instid0(VALU_DEP_1) | instskip(NEXT) | instid1(VALU_DEP_1)
	v_fma_f32 v20, |v19|, v20, 0xbcc618b2
	v_fma_f32 v20, |v19|, v20, 0x3dda74e4
	s_delay_alu instid0(VALU_DEP_1) | instskip(NEXT) | instid1(VALU_DEP_1)
	;; [unrolled: 3-line block ×3, first 2 shown]
	v_fma_f32 v20, |v19|, v20, |v19|
	v_mul_f32_e32 v21, 0xbfb8aa3b, v20
	v_cmp_nlt_f32_e32 vcc_lo, 0x42ce8ed0, v20
	s_delay_alu instid0(VALU_DEP_2) | instskip(SKIP_1) | instid1(VALU_DEP_1)
	v_fma_f32 v22, 0xbfb8aa3b, v20, -v21
	v_rndne_f32_e32 v23, v21
	v_dual_fmamk_f32 v22, v20, 0xb2a5705f, v22 :: v_dual_sub_f32 v21, v21, v23
	s_delay_alu instid0(VALU_DEP_1) | instskip(SKIP_1) | instid1(VALU_DEP_2)
	v_add_f32_e32 v21, v21, v22
	v_cvt_i32_f32_e32 v22, v23
	v_exp_f32_e32 v21, v21
	s_waitcnt_depctr 0xfff
	v_ldexp_f32 v21, v21, v22
	s_delay_alu instid0(VALU_DEP_1) | instskip(SKIP_1) | instid1(VALU_DEP_2)
	v_cndmask_b32_e32 v21, 0, v21, vcc_lo
	v_cmp_ngt_f32_e32 vcc_lo, 0xc2b17218, v20
	v_cndmask_b32_e32 v20, 0x7f800000, v21, vcc_lo
	s_delay_alu instid0(VALU_DEP_1)
	v_sub_f32_e32 v20, 1.0, v20
.LBB2_6:
	s_and_not1_saveexec_b32 s2, s2
; %bb.7:
	v_mul_f32_e32 v20, v19, v19
	s_mov_b32 s3, 0xba1345e1
	s_delay_alu instid0(VALU_DEP_1) | instid1(SALU_CYCLE_1)
	v_fmaak_f32 v21, s3, v20, 0x3ba10414
	s_delay_alu instid0(VALU_DEP_1) | instskip(NEXT) | instid1(VALU_DEP_1)
	v_fmaak_f32 v21, v20, v21, 0xbcdac9b8
	v_fmaak_f32 v21, v20, v21, 0x3de703be
	s_delay_alu instid0(VALU_DEP_1) | instskip(NEXT) | instid1(VALU_DEP_1)
	v_fmaak_f32 v21, v20, v21, 0xbec09330
	v_fmaak_f32 v20, v20, v21, 0x3e0375d0
	s_delay_alu instid0(VALU_DEP_1)
	v_fma_f32 v20, |v19|, v20, |v19|
; %bb.8:
	s_or_b32 exec_lo, exec_lo, s2
	v_mul_f32_e32 v21, 0x3f3504f3, v14
                                        ; implicit-def: $vgpr22
	s_delay_alu instid0(VALU_DEP_1) | instskip(NEXT) | instid1(VALU_DEP_1)
	v_cmp_nlt_f32_e64 s2, |v21|, 1.0
	s_and_saveexec_b32 s3, s2
	s_delay_alu instid0(SALU_CYCLE_1)
	s_xor_b32 s2, exec_lo, s3
	s_cbranch_execz .LBB2_10
; %bb.9:
	s_mov_b32 s3, 0x378e98ab
	s_delay_alu instid0(SALU_CYCLE_1) | instskip(NEXT) | instid1(VALU_DEP_1)
	v_fma_f32 v22, |v21|, s3, 0xb9c68948
	v_fma_f32 v22, |v21|, v22, 0x3b7cd369
	s_delay_alu instid0(VALU_DEP_1) | instskip(NEXT) | instid1(VALU_DEP_1)
	v_fma_f32 v22, |v21|, v22, 0xbcc618b2
	v_fma_f32 v22, |v21|, v22, 0x3dda74e4
	s_delay_alu instid0(VALU_DEP_1) | instskip(NEXT) | instid1(VALU_DEP_1)
	;; [unrolled: 3-line block ×3, first 2 shown]
	v_fma_f32 v22, |v21|, v22, |v21|
	v_mul_f32_e32 v23, 0xbfb8aa3b, v22
	v_cmp_nlt_f32_e32 vcc_lo, 0x42ce8ed0, v22
	s_delay_alu instid0(VALU_DEP_2) | instskip(SKIP_1) | instid1(VALU_DEP_1)
	v_fma_f32 v24, 0xbfb8aa3b, v22, -v23
	v_rndne_f32_e32 v25, v23
	v_dual_fmamk_f32 v24, v22, 0xb2a5705f, v24 :: v_dual_sub_f32 v23, v23, v25
	s_delay_alu instid0(VALU_DEP_1) | instskip(SKIP_1) | instid1(VALU_DEP_2)
	v_add_f32_e32 v23, v23, v24
	v_cvt_i32_f32_e32 v24, v25
	v_exp_f32_e32 v23, v23
	s_waitcnt_depctr 0xfff
	v_ldexp_f32 v23, v23, v24
	s_delay_alu instid0(VALU_DEP_1) | instskip(SKIP_1) | instid1(VALU_DEP_2)
	v_cndmask_b32_e32 v23, 0, v23, vcc_lo
	v_cmp_ngt_f32_e32 vcc_lo, 0xc2b17218, v22
	v_cndmask_b32_e32 v22, 0x7f800000, v23, vcc_lo
	s_delay_alu instid0(VALU_DEP_1)
	v_sub_f32_e32 v22, 1.0, v22
.LBB2_10:
	s_and_not1_saveexec_b32 s2, s2
; %bb.11:
	v_mul_f32_e32 v22, v21, v21
	s_mov_b32 s3, 0xba1345e1
	s_delay_alu instid0(VALU_DEP_1) | instid1(SALU_CYCLE_1)
	v_fmaak_f32 v23, s3, v22, 0x3ba10414
	s_delay_alu instid0(VALU_DEP_1) | instskip(NEXT) | instid1(VALU_DEP_1)
	v_fmaak_f32 v23, v22, v23, 0xbcdac9b8
	v_fmaak_f32 v23, v22, v23, 0x3de703be
	s_delay_alu instid0(VALU_DEP_1) | instskip(NEXT) | instid1(VALU_DEP_1)
	v_fmaak_f32 v23, v22, v23, 0xbec09330
	v_fmaak_f32 v22, v22, v23, 0x3e0375d0
	s_delay_alu instid0(VALU_DEP_1)
	v_fma_f32 v22, |v21|, v22, |v21|
; %bb.12:
	s_or_b32 exec_lo, exec_lo, s2
	v_mul_f32_e32 v23, 0x3f3504f3, v15
                                        ; implicit-def: $vgpr24
	s_delay_alu instid0(VALU_DEP_1) | instskip(NEXT) | instid1(VALU_DEP_1)
	v_cmp_nlt_f32_e64 s2, |v23|, 1.0
	s_and_saveexec_b32 s3, s2
	s_delay_alu instid0(SALU_CYCLE_1)
	s_xor_b32 s2, exec_lo, s3
	s_cbranch_execz .LBB2_14
; %bb.13:
	s_mov_b32 s3, 0x378e98ab
	s_delay_alu instid0(SALU_CYCLE_1) | instskip(NEXT) | instid1(VALU_DEP_1)
	v_fma_f32 v24, |v23|, s3, 0xb9c68948
	v_fma_f32 v24, |v23|, v24, 0x3b7cd369
	s_delay_alu instid0(VALU_DEP_1) | instskip(NEXT) | instid1(VALU_DEP_1)
	v_fma_f32 v24, |v23|, v24, 0xbcc618b2
	v_fma_f32 v24, |v23|, v24, 0x3dda74e4
	s_delay_alu instid0(VALU_DEP_1) | instskip(NEXT) | instid1(VALU_DEP_1)
	;; [unrolled: 3-line block ×3, first 2 shown]
	v_fma_f32 v24, |v23|, v24, |v23|
	v_mul_f32_e32 v25, 0xbfb8aa3b, v24
	v_cmp_nlt_f32_e32 vcc_lo, 0x42ce8ed0, v24
	s_delay_alu instid0(VALU_DEP_2) | instskip(SKIP_1) | instid1(VALU_DEP_1)
	v_fma_f32 v26, 0xbfb8aa3b, v24, -v25
	v_rndne_f32_e32 v27, v25
	v_dual_fmamk_f32 v26, v24, 0xb2a5705f, v26 :: v_dual_sub_f32 v25, v25, v27
	s_delay_alu instid0(VALU_DEP_1) | instskip(SKIP_1) | instid1(VALU_DEP_2)
	v_add_f32_e32 v25, v25, v26
	v_cvt_i32_f32_e32 v26, v27
	v_exp_f32_e32 v25, v25
	s_waitcnt_depctr 0xfff
	v_ldexp_f32 v25, v25, v26
	s_delay_alu instid0(VALU_DEP_1) | instskip(SKIP_1) | instid1(VALU_DEP_2)
	v_cndmask_b32_e32 v25, 0, v25, vcc_lo
	v_cmp_ngt_f32_e32 vcc_lo, 0xc2b17218, v24
	v_cndmask_b32_e32 v24, 0x7f800000, v25, vcc_lo
	s_delay_alu instid0(VALU_DEP_1)
	v_sub_f32_e32 v24, 1.0, v24
.LBB2_14:
	s_and_not1_saveexec_b32 s2, s2
; %bb.15:
	v_mul_f32_e32 v24, v23, v23
	s_mov_b32 s3, 0xba1345e1
	s_delay_alu instid0(VALU_DEP_1) | instid1(SALU_CYCLE_1)
	v_fmaak_f32 v25, s3, v24, 0x3ba10414
	s_delay_alu instid0(VALU_DEP_1) | instskip(NEXT) | instid1(VALU_DEP_1)
	v_fmaak_f32 v25, v24, v25, 0xbcdac9b8
	v_fmaak_f32 v25, v24, v25, 0x3de703be
	s_delay_alu instid0(VALU_DEP_1) | instskip(NEXT) | instid1(VALU_DEP_1)
	v_fmaak_f32 v25, v24, v25, 0xbec09330
	v_fmaak_f32 v24, v24, v25, 0x3e0375d0
	s_delay_alu instid0(VALU_DEP_1)
	v_fma_f32 v24, |v23|, v24, |v23|
; %bb.16:
	s_or_b32 exec_lo, exec_lo, s2
	s_waitcnt vmcnt(2)
	v_mul_f32_e32 v25, 0x3f3504f3, v8
                                        ; implicit-def: $vgpr26
	s_delay_alu instid0(VALU_DEP_1) | instskip(NEXT) | instid1(VALU_DEP_1)
	v_cmp_nlt_f32_e64 s2, |v25|, 1.0
	s_and_saveexec_b32 s3, s2
	s_delay_alu instid0(SALU_CYCLE_1)
	s_xor_b32 s2, exec_lo, s3
	s_cbranch_execz .LBB2_18
; %bb.17:
	s_mov_b32 s3, 0x378e98ab
	s_delay_alu instid0(SALU_CYCLE_1) | instskip(NEXT) | instid1(VALU_DEP_1)
	v_fma_f32 v26, |v25|, s3, 0xb9c68948
	v_fma_f32 v26, |v25|, v26, 0x3b7cd369
	s_delay_alu instid0(VALU_DEP_1) | instskip(NEXT) | instid1(VALU_DEP_1)
	v_fma_f32 v26, |v25|, v26, 0xbcc618b2
	v_fma_f32 v26, |v25|, v26, 0x3dda74e4
	s_delay_alu instid0(VALU_DEP_1) | instskip(NEXT) | instid1(VALU_DEP_1)
	v_fma_f32 v26, |v25|, v26, 0x3f228afd
	v_fma_f32 v26, |v25|, v26, 0x3e03c728
	s_delay_alu instid0(VALU_DEP_1) | instskip(NEXT) | instid1(VALU_DEP_1)
	v_fma_f32 v26, |v25|, v26, |v25|
	v_mul_f32_e32 v27, 0xbfb8aa3b, v26
	v_cmp_nlt_f32_e32 vcc_lo, 0x42ce8ed0, v26
	s_delay_alu instid0(VALU_DEP_2) | instskip(SKIP_1) | instid1(VALU_DEP_1)
	v_fma_f32 v28, 0xbfb8aa3b, v26, -v27
	v_rndne_f32_e32 v29, v27
	v_dual_fmamk_f32 v28, v26, 0xb2a5705f, v28 :: v_dual_sub_f32 v27, v27, v29
	s_delay_alu instid0(VALU_DEP_1) | instskip(SKIP_1) | instid1(VALU_DEP_2)
	v_add_f32_e32 v27, v27, v28
	v_cvt_i32_f32_e32 v28, v29
	v_exp_f32_e32 v27, v27
	s_waitcnt_depctr 0xfff
	v_ldexp_f32 v27, v27, v28
	s_delay_alu instid0(VALU_DEP_1) | instskip(SKIP_1) | instid1(VALU_DEP_2)
	v_cndmask_b32_e32 v27, 0, v27, vcc_lo
	v_cmp_ngt_f32_e32 vcc_lo, 0xc2b17218, v26
	v_cndmask_b32_e32 v26, 0x7f800000, v27, vcc_lo
	s_delay_alu instid0(VALU_DEP_1)
	v_sub_f32_e32 v26, 1.0, v26
.LBB2_18:
	s_and_not1_saveexec_b32 s2, s2
; %bb.19:
	v_mul_f32_e32 v26, v25, v25
	s_mov_b32 s3, 0xba1345e1
	s_delay_alu instid0(VALU_DEP_1) | instid1(SALU_CYCLE_1)
	v_fmaak_f32 v27, s3, v26, 0x3ba10414
	s_delay_alu instid0(VALU_DEP_1) | instskip(NEXT) | instid1(VALU_DEP_1)
	v_fmaak_f32 v27, v26, v27, 0xbcdac9b8
	v_fmaak_f32 v27, v26, v27, 0x3de703be
	s_delay_alu instid0(VALU_DEP_1) | instskip(NEXT) | instid1(VALU_DEP_1)
	v_fmaak_f32 v27, v26, v27, 0xbec09330
	v_fmaak_f32 v26, v26, v27, 0x3e0375d0
	s_delay_alu instid0(VALU_DEP_1)
	v_fma_f32 v26, |v25|, v26, |v25|
; %bb.20:
	s_or_b32 exec_lo, exec_lo, s2
	v_mul_f32_e32 v27, 0x3f3504f3, v9
                                        ; implicit-def: $vgpr28
	s_delay_alu instid0(VALU_DEP_1) | instskip(NEXT) | instid1(VALU_DEP_1)
	v_cmp_nlt_f32_e64 s2, |v27|, 1.0
	s_and_saveexec_b32 s3, s2
	s_delay_alu instid0(SALU_CYCLE_1)
	s_xor_b32 s2, exec_lo, s3
	s_cbranch_execz .LBB2_22
; %bb.21:
	s_mov_b32 s3, 0x378e98ab
	s_delay_alu instid0(SALU_CYCLE_1) | instskip(NEXT) | instid1(VALU_DEP_1)
	v_fma_f32 v28, |v27|, s3, 0xb9c68948
	v_fma_f32 v28, |v27|, v28, 0x3b7cd369
	s_delay_alu instid0(VALU_DEP_1) | instskip(NEXT) | instid1(VALU_DEP_1)
	v_fma_f32 v28, |v27|, v28, 0xbcc618b2
	v_fma_f32 v28, |v27|, v28, 0x3dda74e4
	s_delay_alu instid0(VALU_DEP_1) | instskip(NEXT) | instid1(VALU_DEP_1)
	;; [unrolled: 3-line block ×3, first 2 shown]
	v_fma_f32 v28, |v27|, v28, |v27|
	v_mul_f32_e32 v29, 0xbfb8aa3b, v28
	v_cmp_nlt_f32_e32 vcc_lo, 0x42ce8ed0, v28
	s_delay_alu instid0(VALU_DEP_2) | instskip(SKIP_1) | instid1(VALU_DEP_1)
	v_fma_f32 v30, 0xbfb8aa3b, v28, -v29
	v_rndne_f32_e32 v31, v29
	v_dual_fmamk_f32 v30, v28, 0xb2a5705f, v30 :: v_dual_sub_f32 v29, v29, v31
	s_delay_alu instid0(VALU_DEP_1) | instskip(SKIP_1) | instid1(VALU_DEP_2)
	v_add_f32_e32 v29, v29, v30
	v_cvt_i32_f32_e32 v30, v31
	v_exp_f32_e32 v29, v29
	s_waitcnt_depctr 0xfff
	v_ldexp_f32 v29, v29, v30
	s_delay_alu instid0(VALU_DEP_1) | instskip(SKIP_1) | instid1(VALU_DEP_2)
	v_cndmask_b32_e32 v29, 0, v29, vcc_lo
	v_cmp_ngt_f32_e32 vcc_lo, 0xc2b17218, v28
	v_cndmask_b32_e32 v28, 0x7f800000, v29, vcc_lo
	s_delay_alu instid0(VALU_DEP_1)
	v_sub_f32_e32 v28, 1.0, v28
.LBB2_22:
	s_and_not1_saveexec_b32 s2, s2
; %bb.23:
	v_mul_f32_e32 v28, v27, v27
	s_mov_b32 s3, 0xba1345e1
	s_delay_alu instid0(VALU_DEP_1) | instid1(SALU_CYCLE_1)
	v_fmaak_f32 v29, s3, v28, 0x3ba10414
	s_delay_alu instid0(VALU_DEP_1) | instskip(NEXT) | instid1(VALU_DEP_1)
	v_fmaak_f32 v29, v28, v29, 0xbcdac9b8
	v_fmaak_f32 v29, v28, v29, 0x3de703be
	s_delay_alu instid0(VALU_DEP_1) | instskip(NEXT) | instid1(VALU_DEP_1)
	v_fmaak_f32 v29, v28, v29, 0xbec09330
	v_fmaak_f32 v28, v28, v29, 0x3e0375d0
	s_delay_alu instid0(VALU_DEP_1)
	v_fma_f32 v28, |v27|, v28, |v27|
; %bb.24:
	s_or_b32 exec_lo, exec_lo, s2
	v_mul_f32_e32 v29, 0x3f3504f3, v10
                                        ; implicit-def: $vgpr31
	s_delay_alu instid0(VALU_DEP_1) | instskip(NEXT) | instid1(VALU_DEP_1)
	v_cmp_nlt_f32_e64 s2, |v29|, 1.0
	s_and_saveexec_b32 s3, s2
	s_delay_alu instid0(SALU_CYCLE_1)
	s_xor_b32 s2, exec_lo, s3
	s_cbranch_execz .LBB2_26
; %bb.25:
	s_mov_b32 s3, 0x378e98ab
	s_delay_alu instid0(SALU_CYCLE_1) | instskip(NEXT) | instid1(VALU_DEP_1)
	v_fma_f32 v30, |v29|, s3, 0xb9c68948
	v_fma_f32 v30, |v29|, v30, 0x3b7cd369
	s_delay_alu instid0(VALU_DEP_1) | instskip(NEXT) | instid1(VALU_DEP_1)
	v_fma_f32 v30, |v29|, v30, 0xbcc618b2
	v_fma_f32 v30, |v29|, v30, 0x3dda74e4
	s_delay_alu instid0(VALU_DEP_1) | instskip(NEXT) | instid1(VALU_DEP_1)
	;; [unrolled: 3-line block ×3, first 2 shown]
	v_fma_f32 v30, |v29|, v30, |v29|
	v_mul_f32_e32 v31, 0xbfb8aa3b, v30
	v_cmp_nlt_f32_e32 vcc_lo, 0x42ce8ed0, v30
	s_delay_alu instid0(VALU_DEP_2) | instskip(SKIP_1) | instid1(VALU_DEP_1)
	v_fma_f32 v32, 0xbfb8aa3b, v30, -v31
	v_rndne_f32_e32 v33, v31
	v_dual_fmamk_f32 v32, v30, 0xb2a5705f, v32 :: v_dual_sub_f32 v31, v31, v33
	s_delay_alu instid0(VALU_DEP_1) | instskip(SKIP_1) | instid1(VALU_DEP_2)
	v_add_f32_e32 v31, v31, v32
	v_cvt_i32_f32_e32 v32, v33
	v_exp_f32_e32 v31, v31
	s_waitcnt_depctr 0xfff
	v_ldexp_f32 v31, v31, v32
	s_delay_alu instid0(VALU_DEP_1) | instskip(SKIP_1) | instid1(VALU_DEP_2)
	v_cndmask_b32_e32 v31, 0, v31, vcc_lo
	v_cmp_ngt_f32_e32 vcc_lo, 0xc2b17218, v30
	v_cndmask_b32_e32 v30, 0x7f800000, v31, vcc_lo
	s_delay_alu instid0(VALU_DEP_1)
	v_sub_f32_e32 v31, 1.0, v30
.LBB2_26:
	s_and_not1_saveexec_b32 s2, s2
; %bb.27:
	v_mul_f32_e32 v30, v29, v29
	s_mov_b32 s3, 0xba1345e1
	s_delay_alu instid0(VALU_DEP_1) | instid1(SALU_CYCLE_1)
	v_fmaak_f32 v31, s3, v30, 0x3ba10414
	s_delay_alu instid0(VALU_DEP_1) | instskip(NEXT) | instid1(VALU_DEP_1)
	v_fmaak_f32 v31, v30, v31, 0xbcdac9b8
	v_fmaak_f32 v31, v30, v31, 0x3de703be
	s_delay_alu instid0(VALU_DEP_1) | instskip(NEXT) | instid1(VALU_DEP_1)
	v_fmaak_f32 v31, v30, v31, 0xbec09330
	v_fmaak_f32 v30, v30, v31, 0x3e0375d0
	s_delay_alu instid0(VALU_DEP_1)
	v_fma_f32 v31, |v29|, v30, |v29|
; %bb.28:
	s_or_b32 exec_lo, exec_lo, s2
	v_mul_f32_e32 v30, 0x3f3504f3, v11
	v_lshlrev_b32_e32 v16, 3, v16
                                        ; implicit-def: $vgpr32
	s_delay_alu instid0(VALU_DEP_2) | instskip(NEXT) | instid1(VALU_DEP_1)
	v_cmp_nlt_f32_e64 s2, |v30|, 1.0
	s_and_saveexec_b32 s3, s2
	s_delay_alu instid0(SALU_CYCLE_1)
	s_xor_b32 s2, exec_lo, s3
	s_cbranch_execz .LBB2_30
; %bb.29:
	s_mov_b32 s3, 0x378e98ab
	s_delay_alu instid0(SALU_CYCLE_1) | instskip(NEXT) | instid1(VALU_DEP_1)
	v_fma_f32 v32, |v30|, s3, 0xb9c68948
	v_fma_f32 v32, |v30|, v32, 0x3b7cd369
	s_delay_alu instid0(VALU_DEP_1) | instskip(NEXT) | instid1(VALU_DEP_1)
	v_fma_f32 v32, |v30|, v32, 0xbcc618b2
	v_fma_f32 v32, |v30|, v32, 0x3dda74e4
	s_delay_alu instid0(VALU_DEP_1) | instskip(NEXT) | instid1(VALU_DEP_1)
	;; [unrolled: 3-line block ×3, first 2 shown]
	v_fma_f32 v32, |v30|, v32, |v30|
	v_mul_f32_e32 v33, 0xbfb8aa3b, v32
	v_cmp_nlt_f32_e32 vcc_lo, 0x42ce8ed0, v32
	s_delay_alu instid0(VALU_DEP_2) | instskip(SKIP_1) | instid1(VALU_DEP_1)
	v_fma_f32 v34, 0xbfb8aa3b, v32, -v33
	v_rndne_f32_e32 v35, v33
	v_dual_fmamk_f32 v34, v32, 0xb2a5705f, v34 :: v_dual_sub_f32 v33, v33, v35
	s_delay_alu instid0(VALU_DEP_1) | instskip(SKIP_1) | instid1(VALU_DEP_2)
	v_add_f32_e32 v33, v33, v34
	v_cvt_i32_f32_e32 v34, v35
	v_exp_f32_e32 v33, v33
	s_waitcnt_depctr 0xfff
	v_ldexp_f32 v33, v33, v34
	s_delay_alu instid0(VALU_DEP_1) | instskip(SKIP_1) | instid1(VALU_DEP_2)
	v_cndmask_b32_e32 v33, 0, v33, vcc_lo
	v_cmp_ngt_f32_e32 vcc_lo, 0xc2b17218, v32
	v_cndmask_b32_e32 v32, 0x7f800000, v33, vcc_lo
	s_delay_alu instid0(VALU_DEP_1)
	v_sub_f32_e32 v32, 1.0, v32
.LBB2_30:
	s_and_not1_saveexec_b32 s2, s2
; %bb.31:
	v_mul_f32_e32 v32, v30, v30
	s_mov_b32 s3, 0xba1345e1
	s_delay_alu instid0(VALU_DEP_1) | instid1(SALU_CYCLE_1)
	v_fmaak_f32 v33, s3, v32, 0x3ba10414
	s_delay_alu instid0(VALU_DEP_1) | instskip(NEXT) | instid1(VALU_DEP_1)
	v_fmaak_f32 v33, v32, v33, 0xbcdac9b8
	v_fmaak_f32 v33, v32, v33, 0x3de703be
	s_delay_alu instid0(VALU_DEP_1) | instskip(NEXT) | instid1(VALU_DEP_1)
	v_fmaak_f32 v33, v32, v33, 0xbec09330
	v_fmaak_f32 v32, v32, v33, 0x3e0375d0
	s_delay_alu instid0(VALU_DEP_1)
	v_fma_f32 v32, |v30|, v32, |v30|
; %bb.32:
	s_or_b32 exec_lo, exec_lo, s2
	v_bfi_b32 v29, 0x7fffffff, v31, v29
	v_bfi_b32 v27, 0x7fffffff, v28, v27
	;; [unrolled: 1-line block ×3, first 2 shown]
	v_dual_mul_f32 v10, 0.5, v10 :: v_dual_mul_f32 v9, 0.5, v9
	s_delay_alu instid0(VALU_DEP_3) | instskip(NEXT) | instid1(VALU_DEP_3)
	v_dual_add_f32 v26, 1.0, v29 :: v_dual_add_f32 v27, 1.0, v27
	v_dual_mul_f32 v8, 0.5, v8 :: v_dual_add_f32 v25, 1.0, v25
	v_bfi_b32 v23, 0x7fffffff, v24, v23
	s_delay_alu instid0(VALU_DEP_3) | instskip(NEXT) | instid1(VALU_DEP_3)
	v_dual_mul_f32 v10, v10, v26 :: v_dual_mul_f32 v9, v9, v27
	v_dual_mul_f32 v15, 0.5, v15 :: v_dual_mul_f32 v8, v8, v25
	s_waitcnt vmcnt(1)
	s_delay_alu instid0(VALU_DEP_2) | instskip(NEXT) | instid1(VALU_DEP_3)
	v_dual_add_f32 v23, 1.0, v23 :: v_dual_mul_f32 v2, v2, v10
	v_mul_f32_e32 v1, v1, v9
	v_bfi_b32 v9, 0x7fffffff, v22, v21
	v_mul_f32_e32 v0, v0, v8
	s_delay_alu instid0(VALU_DEP_4)
	v_mul_f32_e32 v8, v15, v23
	v_dual_mul_f32 v10, 0.5, v14 :: v_dual_mul_f32 v13, 0.5, v13
	v_bfi_b32 v14, 0x7fffffff, v20, v19
	v_bfi_b32 v15, 0x7fffffff, v18, v17
	;; [unrolled: 1-line block ×3, first 2 shown]
	v_dual_add_f32 v9, 1.0, v9 :: v_dual_mul_f32 v12, 0.5, v12
	s_delay_alu instid0(VALU_DEP_4) | instskip(NEXT) | instid1(VALU_DEP_4)
	v_dual_mul_f32 v11, 0.5, v11 :: v_dual_add_f32 v14, 1.0, v14
	v_add_f32_e32 v15, 1.0, v15
	s_delay_alu instid0(VALU_DEP_4) | instskip(NEXT) | instid1(VALU_DEP_4)
	v_add_f32_e32 v17, 1.0, v17
	v_mul_f32_e32 v9, v10, v9
	s_lshr_b32 s2, s15, 2
	v_mul_f32_e32 v10, v13, v14
	s_waitcnt vmcnt(0)
	v_dual_mul_f32 v12, v12, v15 :: v_dual_mul_f32 v7, v7, v8
	v_mul_f32_e32 v6, v6, v9
	s_delay_alu instid0(VALU_DEP_3) | instskip(NEXT) | instid1(VALU_DEP_3)
	v_dual_mul_f32 v8, v11, v17 :: v_dual_mul_f32 v5, v5, v10
	v_mul_f32_e32 v4, v4, v12
	s_mul_i32 s3, s2, 0x5000
	s_mul_hi_u32 s2, s2, 0x5000
	s_delay_alu instid0(VALU_DEP_2)
	v_mul_f32_e32 v3, v3, v8
	v_lshlrev_b32_e32 v8, 2, v16
	s_add_u32 s0, s0, s3
	s_addc_u32 s1, s1, s2
	s_clause 0x1
	global_store_b128 v8, v[4:7], s[0:1]
	global_store_b128 v8, v[0:3], s[0:1] offset:16
	s_nop 0
	s_sendmsg sendmsg(MSG_DEALLOC_VGPRS)
	s_endpgm
	.section	.rodata,"a",@progbits
	.p2align	6, 0x0
	.amdhsa_kernel _Z12geglu_kernelIffLi160ELi5120ELi8ELi1EEvPT_PKS0_
		.amdhsa_group_segment_fixed_size 0
		.amdhsa_private_segment_fixed_size 0
		.amdhsa_kernarg_size 16
		.amdhsa_user_sgpr_count 15
		.amdhsa_user_sgpr_dispatch_ptr 0
		.amdhsa_user_sgpr_queue_ptr 0
		.amdhsa_user_sgpr_kernarg_segment_ptr 1
		.amdhsa_user_sgpr_dispatch_id 0
		.amdhsa_user_sgpr_private_segment_size 0
		.amdhsa_wavefront_size32 1
		.amdhsa_uses_dynamic_stack 0
		.amdhsa_enable_private_segment 0
		.amdhsa_system_sgpr_workgroup_id_x 1
		.amdhsa_system_sgpr_workgroup_id_y 0
		.amdhsa_system_sgpr_workgroup_id_z 0
		.amdhsa_system_sgpr_workgroup_info 0
		.amdhsa_system_vgpr_workitem_id 0
		.amdhsa_next_free_vgpr 36
		.amdhsa_next_free_sgpr 16
		.amdhsa_reserve_vcc 1
		.amdhsa_float_round_mode_32 0
		.amdhsa_float_round_mode_16_64 0
		.amdhsa_float_denorm_mode_32 3
		.amdhsa_float_denorm_mode_16_64 3
		.amdhsa_dx10_clamp 1
		.amdhsa_ieee_mode 1
		.amdhsa_fp16_overflow 0
		.amdhsa_workgroup_processor_mode 1
		.amdhsa_memory_ordered 1
		.amdhsa_forward_progress 0
		.amdhsa_shared_vgpr_count 0
		.amdhsa_exception_fp_ieee_invalid_op 0
		.amdhsa_exception_fp_denorm_src 0
		.amdhsa_exception_fp_ieee_div_zero 0
		.amdhsa_exception_fp_ieee_overflow 0
		.amdhsa_exception_fp_ieee_underflow 0
		.amdhsa_exception_fp_ieee_inexact 0
		.amdhsa_exception_int_div_zero 0
	.end_amdhsa_kernel
	.section	.text._Z12geglu_kernelIffLi160ELi5120ELi8ELi1EEvPT_PKS0_,"axG",@progbits,_Z12geglu_kernelIffLi160ELi5120ELi8ELi1EEvPT_PKS0_,comdat
.Lfunc_end2:
	.size	_Z12geglu_kernelIffLi160ELi5120ELi8ELi1EEvPT_PKS0_, .Lfunc_end2-_Z12geglu_kernelIffLi160ELi5120ELi8ELi1EEvPT_PKS0_
                                        ; -- End function
	.section	.AMDGPU.csdata,"",@progbits
; Kernel info:
; codeLenInByte = 3136
; NumSgprs: 18
; NumVgprs: 36
; ScratchSize: 0
; MemoryBound: 0
; FloatMode: 240
; IeeeMode: 1
; LDSByteSize: 0 bytes/workgroup (compile time only)
; SGPRBlocks: 2
; VGPRBlocks: 4
; NumSGPRsForWavesPerEU: 18
; NumVGPRsForWavesPerEU: 36
; Occupancy: 16
; WaveLimiterHint : 0
; COMPUTE_PGM_RSRC2:SCRATCH_EN: 0
; COMPUTE_PGM_RSRC2:USER_SGPR: 15
; COMPUTE_PGM_RSRC2:TRAP_HANDLER: 0
; COMPUTE_PGM_RSRC2:TGID_X_EN: 1
; COMPUTE_PGM_RSRC2:TGID_Y_EN: 0
; COMPUTE_PGM_RSRC2:TGID_Z_EN: 0
; COMPUTE_PGM_RSRC2:TIDIG_COMP_CNT: 0
	.section	.text._Z12geglu_kernelIffLi160ELi1280ELi8ELi2EEvPT_PKS0_,"axG",@progbits,_Z12geglu_kernelIffLi160ELi1280ELi8ELi2EEvPT_PKS0_,comdat
	.protected	_Z12geglu_kernelIffLi160ELi1280ELi8ELi2EEvPT_PKS0_ ; -- Begin function _Z12geglu_kernelIffLi160ELi1280ELi8ELi2EEvPT_PKS0_
	.globl	_Z12geglu_kernelIffLi160ELi1280ELi8ELi2EEvPT_PKS0_
	.p2align	8
	.type	_Z12geglu_kernelIffLi160ELi1280ELi8ELi2EEvPT_PKS0_,@function
_Z12geglu_kernelIffLi160ELi1280ELi8ELi2EEvPT_PKS0_: ; @_Z12geglu_kernelIffLi160ELi1280ELi8ELi2EEvPT_PKS0_
; %bb.0:
	s_load_b128 s[0:3], s[0:1], 0x0
	v_lshlrev_b32_e32 v1, 5, v0
                                        ; implicit-def: $vgpr34
	s_waitcnt lgkmcnt(0)
	s_delay_alu instid0(VALU_DEP_1) | instskip(NEXT) | instid1(VALU_DEP_1)
	v_add_co_u32 v1, s2, s2, v1
	v_add_co_ci_u32_e64 v2, null, s3, 0, s2
	s_lshl_b32 s2, s15, 2
	s_delay_alu instid0(SALU_CYCLE_1) | instskip(NEXT) | instid1(VALU_DEP_1)
	s_or_b32 s3, s2, 1
	v_mad_i64_i32 v[5:6], null, 0x1400, s2, v[1:2]
	v_mad_i64_i32 v[3:4], null, 0x1400, s3, v[1:2]
	s_or_b32 s3, s2, 2
	s_or_b32 s4, s2, 3
	v_mad_i64_i32 v[13:14], null, 0x1400, s3, v[1:2]
	v_mad_i64_i32 v[29:30], null, 0x1400, s4, v[1:2]
	s_clause 0x7
	global_load_b128 v[17:20], v[3:4], off
	global_load_b128 v[25:28], v[3:4], off offset:16
	global_load_b128 v[1:4], v[5:6], off offset:16
	global_load_b128 v[9:12], v[5:6], off
	global_load_b128 v[5:8], v[13:14], off offset:16
	global_load_b128 v[13:16], v[13:14], off
	;; [unrolled: 2-line block ×3, first 2 shown]
	s_waitcnt vmcnt(7)
	v_mul_f32_e32 v33, 0x3f3504f3, v17
	s_delay_alu instid0(VALU_DEP_1) | instskip(NEXT) | instid1(VALU_DEP_1)
	v_cmp_nlt_f32_e64 s2, |v33|, 1.0
	s_and_saveexec_b32 s3, s2
	s_delay_alu instid0(SALU_CYCLE_1)
	s_xor_b32 s2, exec_lo, s3
	s_cbranch_execz .LBB3_2
; %bb.1:
	s_mov_b32 s3, 0x378e98ab
	s_delay_alu instid0(SALU_CYCLE_1) | instskip(NEXT) | instid1(VALU_DEP_1)
	v_fma_f32 v34, |v33|, s3, 0xb9c68948
	v_fma_f32 v34, |v33|, v34, 0x3b7cd369
	s_delay_alu instid0(VALU_DEP_1) | instskip(NEXT) | instid1(VALU_DEP_1)
	v_fma_f32 v34, |v33|, v34, 0xbcc618b2
	v_fma_f32 v34, |v33|, v34, 0x3dda74e4
	s_delay_alu instid0(VALU_DEP_1) | instskip(NEXT) | instid1(VALU_DEP_1)
	;; [unrolled: 3-line block ×3, first 2 shown]
	v_fma_f32 v34, |v33|, v34, |v33|
	v_mul_f32_e32 v35, 0xbfb8aa3b, v34
	v_cmp_nlt_f32_e32 vcc_lo, 0x42ce8ed0, v34
	s_delay_alu instid0(VALU_DEP_2) | instskip(SKIP_1) | instid1(VALU_DEP_1)
	v_fma_f32 v36, 0xbfb8aa3b, v34, -v35
	v_rndne_f32_e32 v37, v35
	v_dual_fmamk_f32 v36, v34, 0xb2a5705f, v36 :: v_dual_sub_f32 v35, v35, v37
	s_delay_alu instid0(VALU_DEP_1) | instskip(SKIP_1) | instid1(VALU_DEP_2)
	v_add_f32_e32 v35, v35, v36
	v_cvt_i32_f32_e32 v36, v37
	v_exp_f32_e32 v35, v35
	s_waitcnt_depctr 0xfff
	v_ldexp_f32 v35, v35, v36
	s_delay_alu instid0(VALU_DEP_1) | instskip(SKIP_1) | instid1(VALU_DEP_2)
	v_cndmask_b32_e32 v35, 0, v35, vcc_lo
	v_cmp_ngt_f32_e32 vcc_lo, 0xc2b17218, v34
	v_cndmask_b32_e32 v34, 0x7f800000, v35, vcc_lo
	s_delay_alu instid0(VALU_DEP_1)
	v_sub_f32_e32 v34, 1.0, v34
.LBB3_2:
	s_and_not1_saveexec_b32 s2, s2
; %bb.3:
	v_mul_f32_e32 v34, v33, v33
	s_mov_b32 s3, 0xba1345e1
	s_delay_alu instid0(VALU_DEP_1) | instid1(SALU_CYCLE_1)
	v_fmaak_f32 v35, s3, v34, 0x3ba10414
	s_delay_alu instid0(VALU_DEP_1) | instskip(NEXT) | instid1(VALU_DEP_1)
	v_fmaak_f32 v35, v34, v35, 0xbcdac9b8
	v_fmaak_f32 v35, v34, v35, 0x3de703be
	s_delay_alu instid0(VALU_DEP_1) | instskip(NEXT) | instid1(VALU_DEP_1)
	v_fmaak_f32 v35, v34, v35, 0xbec09330
	v_fmaak_f32 v34, v34, v35, 0x3e0375d0
	s_delay_alu instid0(VALU_DEP_1)
	v_fma_f32 v34, |v33|, v34, |v33|
; %bb.4:
	s_or_b32 exec_lo, exec_lo, s2
	v_mul_f32_e32 v35, 0x3f3504f3, v18
                                        ; implicit-def: $vgpr36
	s_delay_alu instid0(VALU_DEP_1) | instskip(NEXT) | instid1(VALU_DEP_1)
	v_cmp_nlt_f32_e64 s2, |v35|, 1.0
	s_and_saveexec_b32 s3, s2
	s_delay_alu instid0(SALU_CYCLE_1)
	s_xor_b32 s2, exec_lo, s3
	s_cbranch_execz .LBB3_6
; %bb.5:
	s_mov_b32 s3, 0x378e98ab
	s_delay_alu instid0(SALU_CYCLE_1) | instskip(NEXT) | instid1(VALU_DEP_1)
	v_fma_f32 v36, |v35|, s3, 0xb9c68948
	v_fma_f32 v36, |v35|, v36, 0x3b7cd369
	s_delay_alu instid0(VALU_DEP_1) | instskip(NEXT) | instid1(VALU_DEP_1)
	v_fma_f32 v36, |v35|, v36, 0xbcc618b2
	v_fma_f32 v36, |v35|, v36, 0x3dda74e4
	s_delay_alu instid0(VALU_DEP_1) | instskip(NEXT) | instid1(VALU_DEP_1)
	;; [unrolled: 3-line block ×3, first 2 shown]
	v_fma_f32 v36, |v35|, v36, |v35|
	v_mul_f32_e32 v37, 0xbfb8aa3b, v36
	v_cmp_nlt_f32_e32 vcc_lo, 0x42ce8ed0, v36
	s_delay_alu instid0(VALU_DEP_2) | instskip(SKIP_1) | instid1(VALU_DEP_1)
	v_fma_f32 v38, 0xbfb8aa3b, v36, -v37
	v_rndne_f32_e32 v39, v37
	v_dual_fmamk_f32 v38, v36, 0xb2a5705f, v38 :: v_dual_sub_f32 v37, v37, v39
	s_delay_alu instid0(VALU_DEP_1) | instskip(SKIP_1) | instid1(VALU_DEP_2)
	v_add_f32_e32 v37, v37, v38
	v_cvt_i32_f32_e32 v38, v39
	v_exp_f32_e32 v37, v37
	s_waitcnt_depctr 0xfff
	v_ldexp_f32 v37, v37, v38
	s_delay_alu instid0(VALU_DEP_1) | instskip(SKIP_1) | instid1(VALU_DEP_2)
	v_cndmask_b32_e32 v37, 0, v37, vcc_lo
	v_cmp_ngt_f32_e32 vcc_lo, 0xc2b17218, v36
	v_cndmask_b32_e32 v36, 0x7f800000, v37, vcc_lo
	s_delay_alu instid0(VALU_DEP_1)
	v_sub_f32_e32 v36, 1.0, v36
.LBB3_6:
	s_and_not1_saveexec_b32 s2, s2
; %bb.7:
	v_mul_f32_e32 v36, v35, v35
	s_mov_b32 s3, 0xba1345e1
	s_delay_alu instid0(VALU_DEP_1) | instid1(SALU_CYCLE_1)
	v_fmaak_f32 v37, s3, v36, 0x3ba10414
	s_delay_alu instid0(VALU_DEP_1) | instskip(NEXT) | instid1(VALU_DEP_1)
	v_fmaak_f32 v37, v36, v37, 0xbcdac9b8
	v_fmaak_f32 v37, v36, v37, 0x3de703be
	s_delay_alu instid0(VALU_DEP_1) | instskip(NEXT) | instid1(VALU_DEP_1)
	v_fmaak_f32 v37, v36, v37, 0xbec09330
	v_fmaak_f32 v36, v36, v37, 0x3e0375d0
	s_delay_alu instid0(VALU_DEP_1)
	v_fma_f32 v36, |v35|, v36, |v35|
; %bb.8:
	s_or_b32 exec_lo, exec_lo, s2
	v_mul_f32_e32 v37, 0x3f3504f3, v19
                                        ; implicit-def: $vgpr38
	s_delay_alu instid0(VALU_DEP_1) | instskip(NEXT) | instid1(VALU_DEP_1)
	v_cmp_nlt_f32_e64 s2, |v37|, 1.0
	s_and_saveexec_b32 s3, s2
	s_delay_alu instid0(SALU_CYCLE_1)
	s_xor_b32 s2, exec_lo, s3
	s_cbranch_execz .LBB3_10
; %bb.9:
	s_mov_b32 s3, 0x378e98ab
	s_delay_alu instid0(SALU_CYCLE_1) | instskip(NEXT) | instid1(VALU_DEP_1)
	v_fma_f32 v38, |v37|, s3, 0xb9c68948
	v_fma_f32 v38, |v37|, v38, 0x3b7cd369
	s_delay_alu instid0(VALU_DEP_1) | instskip(NEXT) | instid1(VALU_DEP_1)
	v_fma_f32 v38, |v37|, v38, 0xbcc618b2
	v_fma_f32 v38, |v37|, v38, 0x3dda74e4
	s_delay_alu instid0(VALU_DEP_1) | instskip(NEXT) | instid1(VALU_DEP_1)
	;; [unrolled: 3-line block ×3, first 2 shown]
	v_fma_f32 v38, |v37|, v38, |v37|
	v_mul_f32_e32 v39, 0xbfb8aa3b, v38
	v_cmp_nlt_f32_e32 vcc_lo, 0x42ce8ed0, v38
	s_delay_alu instid0(VALU_DEP_2) | instskip(SKIP_1) | instid1(VALU_DEP_1)
	v_fma_f32 v40, 0xbfb8aa3b, v38, -v39
	v_rndne_f32_e32 v41, v39
	v_dual_fmamk_f32 v40, v38, 0xb2a5705f, v40 :: v_dual_sub_f32 v39, v39, v41
	s_delay_alu instid0(VALU_DEP_1) | instskip(SKIP_1) | instid1(VALU_DEP_2)
	v_add_f32_e32 v39, v39, v40
	v_cvt_i32_f32_e32 v40, v41
	v_exp_f32_e32 v39, v39
	s_waitcnt_depctr 0xfff
	v_ldexp_f32 v39, v39, v40
	s_delay_alu instid0(VALU_DEP_1) | instskip(SKIP_1) | instid1(VALU_DEP_2)
	v_cndmask_b32_e32 v39, 0, v39, vcc_lo
	v_cmp_ngt_f32_e32 vcc_lo, 0xc2b17218, v38
	v_cndmask_b32_e32 v38, 0x7f800000, v39, vcc_lo
	s_delay_alu instid0(VALU_DEP_1)
	v_sub_f32_e32 v38, 1.0, v38
.LBB3_10:
	s_and_not1_saveexec_b32 s2, s2
; %bb.11:
	v_mul_f32_e32 v38, v37, v37
	s_mov_b32 s3, 0xba1345e1
	s_delay_alu instid0(VALU_DEP_1) | instid1(SALU_CYCLE_1)
	v_fmaak_f32 v39, s3, v38, 0x3ba10414
	s_delay_alu instid0(VALU_DEP_1) | instskip(NEXT) | instid1(VALU_DEP_1)
	v_fmaak_f32 v39, v38, v39, 0xbcdac9b8
	v_fmaak_f32 v39, v38, v39, 0x3de703be
	s_delay_alu instid0(VALU_DEP_1) | instskip(NEXT) | instid1(VALU_DEP_1)
	v_fmaak_f32 v39, v38, v39, 0xbec09330
	v_fmaak_f32 v38, v38, v39, 0x3e0375d0
	s_delay_alu instid0(VALU_DEP_1)
	v_fma_f32 v38, |v37|, v38, |v37|
; %bb.12:
	s_or_b32 exec_lo, exec_lo, s2
	v_mul_f32_e32 v39, 0x3f3504f3, v20
                                        ; implicit-def: $vgpr40
	s_delay_alu instid0(VALU_DEP_1) | instskip(NEXT) | instid1(VALU_DEP_1)
	v_cmp_nlt_f32_e64 s2, |v39|, 1.0
	s_and_saveexec_b32 s3, s2
	s_delay_alu instid0(SALU_CYCLE_1)
	s_xor_b32 s2, exec_lo, s3
	s_cbranch_execz .LBB3_14
; %bb.13:
	s_mov_b32 s3, 0x378e98ab
	s_delay_alu instid0(SALU_CYCLE_1) | instskip(NEXT) | instid1(VALU_DEP_1)
	v_fma_f32 v40, |v39|, s3, 0xb9c68948
	v_fma_f32 v40, |v39|, v40, 0x3b7cd369
	s_delay_alu instid0(VALU_DEP_1) | instskip(NEXT) | instid1(VALU_DEP_1)
	v_fma_f32 v40, |v39|, v40, 0xbcc618b2
	v_fma_f32 v40, |v39|, v40, 0x3dda74e4
	s_delay_alu instid0(VALU_DEP_1) | instskip(NEXT) | instid1(VALU_DEP_1)
	v_fma_f32 v40, |v39|, v40, 0x3f228afd
	v_fma_f32 v40, |v39|, v40, 0x3e03c728
	s_delay_alu instid0(VALU_DEP_1) | instskip(NEXT) | instid1(VALU_DEP_1)
	v_fma_f32 v40, |v39|, v40, |v39|
	v_mul_f32_e32 v41, 0xbfb8aa3b, v40
	v_cmp_nlt_f32_e32 vcc_lo, 0x42ce8ed0, v40
	s_delay_alu instid0(VALU_DEP_2) | instskip(SKIP_1) | instid1(VALU_DEP_1)
	v_fma_f32 v42, 0xbfb8aa3b, v40, -v41
	v_rndne_f32_e32 v43, v41
	v_dual_fmamk_f32 v42, v40, 0xb2a5705f, v42 :: v_dual_sub_f32 v41, v41, v43
	s_delay_alu instid0(VALU_DEP_1) | instskip(SKIP_1) | instid1(VALU_DEP_2)
	v_add_f32_e32 v41, v41, v42
	v_cvt_i32_f32_e32 v42, v43
	v_exp_f32_e32 v41, v41
	s_waitcnt_depctr 0xfff
	v_ldexp_f32 v41, v41, v42
	s_delay_alu instid0(VALU_DEP_1) | instskip(SKIP_1) | instid1(VALU_DEP_2)
	v_cndmask_b32_e32 v41, 0, v41, vcc_lo
	v_cmp_ngt_f32_e32 vcc_lo, 0xc2b17218, v40
	v_cndmask_b32_e32 v40, 0x7f800000, v41, vcc_lo
	s_delay_alu instid0(VALU_DEP_1)
	v_sub_f32_e32 v40, 1.0, v40
.LBB3_14:
	s_and_not1_saveexec_b32 s2, s2
; %bb.15:
	v_mul_f32_e32 v40, v39, v39
	s_mov_b32 s3, 0xba1345e1
	s_delay_alu instid0(VALU_DEP_1) | instid1(SALU_CYCLE_1)
	v_fmaak_f32 v41, s3, v40, 0x3ba10414
	s_delay_alu instid0(VALU_DEP_1) | instskip(NEXT) | instid1(VALU_DEP_1)
	v_fmaak_f32 v41, v40, v41, 0xbcdac9b8
	v_fmaak_f32 v41, v40, v41, 0x3de703be
	s_delay_alu instid0(VALU_DEP_1) | instskip(NEXT) | instid1(VALU_DEP_1)
	v_fmaak_f32 v41, v40, v41, 0xbec09330
	v_fmaak_f32 v40, v40, v41, 0x3e0375d0
	s_delay_alu instid0(VALU_DEP_1)
	v_fma_f32 v40, |v39|, v40, |v39|
; %bb.16:
	s_or_b32 exec_lo, exec_lo, s2
	s_waitcnt vmcnt(6)
	v_mul_f32_e32 v41, 0x3f3504f3, v25
                                        ; implicit-def: $vgpr42
	s_delay_alu instid0(VALU_DEP_1) | instskip(NEXT) | instid1(VALU_DEP_1)
	v_cmp_nlt_f32_e64 s2, |v41|, 1.0
	s_and_saveexec_b32 s3, s2
	s_delay_alu instid0(SALU_CYCLE_1)
	s_xor_b32 s2, exec_lo, s3
	s_cbranch_execz .LBB3_18
; %bb.17:
	s_mov_b32 s3, 0x378e98ab
	s_delay_alu instid0(SALU_CYCLE_1) | instskip(NEXT) | instid1(VALU_DEP_1)
	v_fma_f32 v42, |v41|, s3, 0xb9c68948
	v_fma_f32 v42, |v41|, v42, 0x3b7cd369
	s_delay_alu instid0(VALU_DEP_1) | instskip(NEXT) | instid1(VALU_DEP_1)
	v_fma_f32 v42, |v41|, v42, 0xbcc618b2
	v_fma_f32 v42, |v41|, v42, 0x3dda74e4
	s_delay_alu instid0(VALU_DEP_1) | instskip(NEXT) | instid1(VALU_DEP_1)
	;; [unrolled: 3-line block ×3, first 2 shown]
	v_fma_f32 v42, |v41|, v42, |v41|
	v_mul_f32_e32 v43, 0xbfb8aa3b, v42
	v_cmp_nlt_f32_e32 vcc_lo, 0x42ce8ed0, v42
	s_delay_alu instid0(VALU_DEP_2) | instskip(SKIP_1) | instid1(VALU_DEP_1)
	v_fma_f32 v44, 0xbfb8aa3b, v42, -v43
	v_rndne_f32_e32 v45, v43
	v_dual_fmamk_f32 v44, v42, 0xb2a5705f, v44 :: v_dual_sub_f32 v43, v43, v45
	s_delay_alu instid0(VALU_DEP_1) | instskip(SKIP_1) | instid1(VALU_DEP_2)
	v_add_f32_e32 v43, v43, v44
	v_cvt_i32_f32_e32 v44, v45
	v_exp_f32_e32 v43, v43
	s_waitcnt_depctr 0xfff
	v_ldexp_f32 v43, v43, v44
	s_delay_alu instid0(VALU_DEP_1) | instskip(SKIP_1) | instid1(VALU_DEP_2)
	v_cndmask_b32_e32 v43, 0, v43, vcc_lo
	v_cmp_ngt_f32_e32 vcc_lo, 0xc2b17218, v42
	v_cndmask_b32_e32 v42, 0x7f800000, v43, vcc_lo
	s_delay_alu instid0(VALU_DEP_1)
	v_sub_f32_e32 v42, 1.0, v42
.LBB3_18:
	s_and_not1_saveexec_b32 s2, s2
; %bb.19:
	v_mul_f32_e32 v42, v41, v41
	s_mov_b32 s3, 0xba1345e1
	s_delay_alu instid0(VALU_DEP_1) | instid1(SALU_CYCLE_1)
	v_fmaak_f32 v43, s3, v42, 0x3ba10414
	s_delay_alu instid0(VALU_DEP_1) | instskip(NEXT) | instid1(VALU_DEP_1)
	v_fmaak_f32 v43, v42, v43, 0xbcdac9b8
	v_fmaak_f32 v43, v42, v43, 0x3de703be
	s_delay_alu instid0(VALU_DEP_1) | instskip(NEXT) | instid1(VALU_DEP_1)
	v_fmaak_f32 v43, v42, v43, 0xbec09330
	v_fmaak_f32 v42, v42, v43, 0x3e0375d0
	s_delay_alu instid0(VALU_DEP_1)
	v_fma_f32 v42, |v41|, v42, |v41|
; %bb.20:
	s_or_b32 exec_lo, exec_lo, s2
	v_mul_f32_e32 v43, 0x3f3504f3, v26
                                        ; implicit-def: $vgpr44
	s_delay_alu instid0(VALU_DEP_1) | instskip(NEXT) | instid1(VALU_DEP_1)
	v_cmp_nlt_f32_e64 s2, |v43|, 1.0
	s_and_saveexec_b32 s3, s2
	s_delay_alu instid0(SALU_CYCLE_1)
	s_xor_b32 s2, exec_lo, s3
	s_cbranch_execz .LBB3_22
; %bb.21:
	s_mov_b32 s3, 0x378e98ab
	s_delay_alu instid0(SALU_CYCLE_1) | instskip(NEXT) | instid1(VALU_DEP_1)
	v_fma_f32 v44, |v43|, s3, 0xb9c68948
	v_fma_f32 v44, |v43|, v44, 0x3b7cd369
	s_delay_alu instid0(VALU_DEP_1) | instskip(NEXT) | instid1(VALU_DEP_1)
	v_fma_f32 v44, |v43|, v44, 0xbcc618b2
	v_fma_f32 v44, |v43|, v44, 0x3dda74e4
	s_delay_alu instid0(VALU_DEP_1) | instskip(NEXT) | instid1(VALU_DEP_1)
	;; [unrolled: 3-line block ×3, first 2 shown]
	v_fma_f32 v44, |v43|, v44, |v43|
	v_mul_f32_e32 v45, 0xbfb8aa3b, v44
	v_cmp_nlt_f32_e32 vcc_lo, 0x42ce8ed0, v44
	s_delay_alu instid0(VALU_DEP_2) | instskip(SKIP_1) | instid1(VALU_DEP_1)
	v_fma_f32 v46, 0xbfb8aa3b, v44, -v45
	v_rndne_f32_e32 v47, v45
	v_dual_fmamk_f32 v46, v44, 0xb2a5705f, v46 :: v_dual_sub_f32 v45, v45, v47
	s_delay_alu instid0(VALU_DEP_1) | instskip(SKIP_1) | instid1(VALU_DEP_2)
	v_add_f32_e32 v45, v45, v46
	v_cvt_i32_f32_e32 v46, v47
	v_exp_f32_e32 v45, v45
	s_waitcnt_depctr 0xfff
	v_ldexp_f32 v45, v45, v46
	s_delay_alu instid0(VALU_DEP_1) | instskip(SKIP_1) | instid1(VALU_DEP_2)
	v_cndmask_b32_e32 v45, 0, v45, vcc_lo
	v_cmp_ngt_f32_e32 vcc_lo, 0xc2b17218, v44
	v_cndmask_b32_e32 v44, 0x7f800000, v45, vcc_lo
	s_delay_alu instid0(VALU_DEP_1)
	v_sub_f32_e32 v44, 1.0, v44
.LBB3_22:
	s_and_not1_saveexec_b32 s2, s2
; %bb.23:
	v_mul_f32_e32 v44, v43, v43
	s_mov_b32 s3, 0xba1345e1
	s_delay_alu instid0(VALU_DEP_1) | instid1(SALU_CYCLE_1)
	v_fmaak_f32 v45, s3, v44, 0x3ba10414
	s_delay_alu instid0(VALU_DEP_1) | instskip(NEXT) | instid1(VALU_DEP_1)
	v_fmaak_f32 v45, v44, v45, 0xbcdac9b8
	v_fmaak_f32 v45, v44, v45, 0x3de703be
	s_delay_alu instid0(VALU_DEP_1) | instskip(NEXT) | instid1(VALU_DEP_1)
	v_fmaak_f32 v45, v44, v45, 0xbec09330
	v_fmaak_f32 v44, v44, v45, 0x3e0375d0
	s_delay_alu instid0(VALU_DEP_1)
	v_fma_f32 v44, |v43|, v44, |v43|
; %bb.24:
	s_or_b32 exec_lo, exec_lo, s2
	v_mul_f32_e32 v45, 0x3f3504f3, v27
                                        ; implicit-def: $vgpr46
	s_delay_alu instid0(VALU_DEP_1) | instskip(NEXT) | instid1(VALU_DEP_1)
	v_cmp_nlt_f32_e64 s2, |v45|, 1.0
	s_and_saveexec_b32 s3, s2
	s_delay_alu instid0(SALU_CYCLE_1)
	s_xor_b32 s2, exec_lo, s3
	s_cbranch_execz .LBB3_26
; %bb.25:
	s_mov_b32 s3, 0x378e98ab
	s_delay_alu instid0(SALU_CYCLE_1) | instskip(NEXT) | instid1(VALU_DEP_1)
	v_fma_f32 v46, |v45|, s3, 0xb9c68948
	v_fma_f32 v46, |v45|, v46, 0x3b7cd369
	s_delay_alu instid0(VALU_DEP_1) | instskip(NEXT) | instid1(VALU_DEP_1)
	v_fma_f32 v46, |v45|, v46, 0xbcc618b2
	v_fma_f32 v46, |v45|, v46, 0x3dda74e4
	s_delay_alu instid0(VALU_DEP_1) | instskip(NEXT) | instid1(VALU_DEP_1)
	;; [unrolled: 3-line block ×3, first 2 shown]
	v_fma_f32 v46, |v45|, v46, |v45|
	v_mul_f32_e32 v47, 0xbfb8aa3b, v46
	v_cmp_nlt_f32_e32 vcc_lo, 0x42ce8ed0, v46
	s_delay_alu instid0(VALU_DEP_2) | instskip(SKIP_1) | instid1(VALU_DEP_1)
	v_fma_f32 v48, 0xbfb8aa3b, v46, -v47
	v_rndne_f32_e32 v49, v47
	v_dual_fmamk_f32 v48, v46, 0xb2a5705f, v48 :: v_dual_sub_f32 v47, v47, v49
	s_delay_alu instid0(VALU_DEP_1) | instskip(SKIP_1) | instid1(VALU_DEP_2)
	v_add_f32_e32 v47, v47, v48
	v_cvt_i32_f32_e32 v48, v49
	v_exp_f32_e32 v47, v47
	s_waitcnt_depctr 0xfff
	v_ldexp_f32 v47, v47, v48
	s_delay_alu instid0(VALU_DEP_1) | instskip(SKIP_1) | instid1(VALU_DEP_2)
	v_cndmask_b32_e32 v47, 0, v47, vcc_lo
	v_cmp_ngt_f32_e32 vcc_lo, 0xc2b17218, v46
	v_cndmask_b32_e32 v46, 0x7f800000, v47, vcc_lo
	s_delay_alu instid0(VALU_DEP_1)
	v_sub_f32_e32 v46, 1.0, v46
.LBB3_26:
	s_and_not1_saveexec_b32 s2, s2
; %bb.27:
	v_mul_f32_e32 v46, v45, v45
	s_mov_b32 s3, 0xba1345e1
	s_delay_alu instid0(VALU_DEP_1) | instid1(SALU_CYCLE_1)
	v_fmaak_f32 v47, s3, v46, 0x3ba10414
	s_delay_alu instid0(VALU_DEP_1) | instskip(NEXT) | instid1(VALU_DEP_1)
	v_fmaak_f32 v47, v46, v47, 0xbcdac9b8
	v_fmaak_f32 v47, v46, v47, 0x3de703be
	s_delay_alu instid0(VALU_DEP_1) | instskip(NEXT) | instid1(VALU_DEP_1)
	v_fmaak_f32 v47, v46, v47, 0xbec09330
	v_fmaak_f32 v46, v46, v47, 0x3e0375d0
	s_delay_alu instid0(VALU_DEP_1)
	v_fma_f32 v46, |v45|, v46, |v45|
; %bb.28:
	s_or_b32 exec_lo, exec_lo, s2
	v_mul_f32_e32 v47, 0x3f3504f3, v28
                                        ; implicit-def: $vgpr48
	s_delay_alu instid0(VALU_DEP_1) | instskip(NEXT) | instid1(VALU_DEP_1)
	v_cmp_nlt_f32_e64 s2, |v47|, 1.0
	s_and_saveexec_b32 s3, s2
	s_delay_alu instid0(SALU_CYCLE_1)
	s_xor_b32 s2, exec_lo, s3
	s_cbranch_execz .LBB3_30
; %bb.29:
	s_mov_b32 s3, 0x378e98ab
	s_delay_alu instid0(SALU_CYCLE_1) | instskip(NEXT) | instid1(VALU_DEP_1)
	v_fma_f32 v48, |v47|, s3, 0xb9c68948
	v_fma_f32 v48, |v47|, v48, 0x3b7cd369
	s_delay_alu instid0(VALU_DEP_1) | instskip(NEXT) | instid1(VALU_DEP_1)
	v_fma_f32 v48, |v47|, v48, 0xbcc618b2
	v_fma_f32 v48, |v47|, v48, 0x3dda74e4
	s_delay_alu instid0(VALU_DEP_1) | instskip(NEXT) | instid1(VALU_DEP_1)
	;; [unrolled: 3-line block ×3, first 2 shown]
	v_fma_f32 v48, |v47|, v48, |v47|
	v_mul_f32_e32 v49, 0xbfb8aa3b, v48
	v_cmp_nlt_f32_e32 vcc_lo, 0x42ce8ed0, v48
	s_delay_alu instid0(VALU_DEP_2) | instskip(SKIP_1) | instid1(VALU_DEP_1)
	v_fma_f32 v50, 0xbfb8aa3b, v48, -v49
	v_rndne_f32_e32 v51, v49
	v_dual_fmamk_f32 v50, v48, 0xb2a5705f, v50 :: v_dual_sub_f32 v49, v49, v51
	s_delay_alu instid0(VALU_DEP_1) | instskip(SKIP_1) | instid1(VALU_DEP_2)
	v_add_f32_e32 v49, v49, v50
	v_cvt_i32_f32_e32 v50, v51
	v_exp_f32_e32 v49, v49
	s_waitcnt_depctr 0xfff
	v_ldexp_f32 v49, v49, v50
	s_delay_alu instid0(VALU_DEP_1) | instskip(SKIP_1) | instid1(VALU_DEP_2)
	v_cndmask_b32_e32 v49, 0, v49, vcc_lo
	v_cmp_ngt_f32_e32 vcc_lo, 0xc2b17218, v48
	v_cndmask_b32_e32 v48, 0x7f800000, v49, vcc_lo
	s_delay_alu instid0(VALU_DEP_1)
	v_sub_f32_e32 v48, 1.0, v48
.LBB3_30:
	s_and_not1_saveexec_b32 s2, s2
; %bb.31:
	v_mul_f32_e32 v48, v47, v47
	s_mov_b32 s3, 0xba1345e1
	s_delay_alu instid0(VALU_DEP_1) | instid1(SALU_CYCLE_1)
	v_fmaak_f32 v49, s3, v48, 0x3ba10414
	s_delay_alu instid0(VALU_DEP_1) | instskip(NEXT) | instid1(VALU_DEP_1)
	v_fmaak_f32 v49, v48, v49, 0xbcdac9b8
	v_fmaak_f32 v49, v48, v49, 0x3de703be
	s_delay_alu instid0(VALU_DEP_1) | instskip(NEXT) | instid1(VALU_DEP_1)
	v_fmaak_f32 v49, v48, v49, 0xbec09330
	v_fmaak_f32 v48, v48, v49, 0x3e0375d0
	s_delay_alu instid0(VALU_DEP_1)
	v_fma_f32 v48, |v47|, v48, |v47|
; %bb.32:
	s_or_b32 exec_lo, exec_lo, s2
	s_waitcnt vmcnt(0)
	v_mul_f32_e32 v49, 0x3f3504f3, v29
                                        ; implicit-def: $vgpr50
	s_delay_alu instid0(VALU_DEP_1) | instskip(NEXT) | instid1(VALU_DEP_1)
	v_cmp_nlt_f32_e64 s2, |v49|, 1.0
	s_and_saveexec_b32 s3, s2
	s_delay_alu instid0(SALU_CYCLE_1)
	s_xor_b32 s2, exec_lo, s3
	s_cbranch_execz .LBB3_34
; %bb.33:
	s_mov_b32 s3, 0x378e98ab
	s_delay_alu instid0(SALU_CYCLE_1) | instskip(NEXT) | instid1(VALU_DEP_1)
	v_fma_f32 v50, |v49|, s3, 0xb9c68948
	v_fma_f32 v50, |v49|, v50, 0x3b7cd369
	s_delay_alu instid0(VALU_DEP_1) | instskip(NEXT) | instid1(VALU_DEP_1)
	v_fma_f32 v50, |v49|, v50, 0xbcc618b2
	v_fma_f32 v50, |v49|, v50, 0x3dda74e4
	s_delay_alu instid0(VALU_DEP_1) | instskip(NEXT) | instid1(VALU_DEP_1)
	;; [unrolled: 3-line block ×3, first 2 shown]
	v_fma_f32 v50, |v49|, v50, |v49|
	v_mul_f32_e32 v51, 0xbfb8aa3b, v50
	v_cmp_nlt_f32_e32 vcc_lo, 0x42ce8ed0, v50
	s_delay_alu instid0(VALU_DEP_2) | instskip(SKIP_1) | instid1(VALU_DEP_1)
	v_fma_f32 v52, 0xbfb8aa3b, v50, -v51
	v_rndne_f32_e32 v53, v51
	v_dual_fmamk_f32 v52, v50, 0xb2a5705f, v52 :: v_dual_sub_f32 v51, v51, v53
	s_delay_alu instid0(VALU_DEP_1) | instskip(SKIP_1) | instid1(VALU_DEP_2)
	v_add_f32_e32 v51, v51, v52
	v_cvt_i32_f32_e32 v52, v53
	v_exp_f32_e32 v51, v51
	s_waitcnt_depctr 0xfff
	v_ldexp_f32 v51, v51, v52
	s_delay_alu instid0(VALU_DEP_1) | instskip(SKIP_1) | instid1(VALU_DEP_2)
	v_cndmask_b32_e32 v51, 0, v51, vcc_lo
	v_cmp_ngt_f32_e32 vcc_lo, 0xc2b17218, v50
	v_cndmask_b32_e32 v50, 0x7f800000, v51, vcc_lo
	s_delay_alu instid0(VALU_DEP_1)
	v_sub_f32_e32 v50, 1.0, v50
.LBB3_34:
	s_and_not1_saveexec_b32 s2, s2
; %bb.35:
	v_mul_f32_e32 v50, v49, v49
	s_mov_b32 s3, 0xba1345e1
	s_delay_alu instid0(VALU_DEP_1) | instid1(SALU_CYCLE_1)
	v_fmaak_f32 v51, s3, v50, 0x3ba10414
	s_delay_alu instid0(VALU_DEP_1) | instskip(NEXT) | instid1(VALU_DEP_1)
	v_fmaak_f32 v51, v50, v51, 0xbcdac9b8
	v_fmaak_f32 v51, v50, v51, 0x3de703be
	s_delay_alu instid0(VALU_DEP_1) | instskip(NEXT) | instid1(VALU_DEP_1)
	v_fmaak_f32 v51, v50, v51, 0xbec09330
	v_fmaak_f32 v50, v50, v51, 0x3e0375d0
	s_delay_alu instid0(VALU_DEP_1)
	v_fma_f32 v50, |v49|, v50, |v49|
; %bb.36:
	s_or_b32 exec_lo, exec_lo, s2
	v_mul_f32_e32 v51, 0x3f3504f3, v30
                                        ; implicit-def: $vgpr52
	s_delay_alu instid0(VALU_DEP_1) | instskip(NEXT) | instid1(VALU_DEP_1)
	v_cmp_nlt_f32_e64 s2, |v51|, 1.0
	s_and_saveexec_b32 s3, s2
	s_delay_alu instid0(SALU_CYCLE_1)
	s_xor_b32 s2, exec_lo, s3
	s_cbranch_execz .LBB3_38
; %bb.37:
	s_mov_b32 s3, 0x378e98ab
	s_delay_alu instid0(SALU_CYCLE_1) | instskip(NEXT) | instid1(VALU_DEP_1)
	v_fma_f32 v52, |v51|, s3, 0xb9c68948
	v_fma_f32 v52, |v51|, v52, 0x3b7cd369
	s_delay_alu instid0(VALU_DEP_1) | instskip(NEXT) | instid1(VALU_DEP_1)
	v_fma_f32 v52, |v51|, v52, 0xbcc618b2
	v_fma_f32 v52, |v51|, v52, 0x3dda74e4
	s_delay_alu instid0(VALU_DEP_1) | instskip(NEXT) | instid1(VALU_DEP_1)
	v_fma_f32 v52, |v51|, v52, 0x3f228afd
	v_fma_f32 v52, |v51|, v52, 0x3e03c728
	s_delay_alu instid0(VALU_DEP_1) | instskip(NEXT) | instid1(VALU_DEP_1)
	v_fma_f32 v52, |v51|, v52, |v51|
	v_mul_f32_e32 v53, 0xbfb8aa3b, v52
	v_cmp_nlt_f32_e32 vcc_lo, 0x42ce8ed0, v52
	s_delay_alu instid0(VALU_DEP_2) | instskip(SKIP_1) | instid1(VALU_DEP_1)
	v_fma_f32 v54, 0xbfb8aa3b, v52, -v53
	v_rndne_f32_e32 v55, v53
	v_dual_fmamk_f32 v54, v52, 0xb2a5705f, v54 :: v_dual_sub_f32 v53, v53, v55
	s_delay_alu instid0(VALU_DEP_1) | instskip(SKIP_1) | instid1(VALU_DEP_2)
	v_add_f32_e32 v53, v53, v54
	v_cvt_i32_f32_e32 v54, v55
	v_exp_f32_e32 v53, v53
	s_waitcnt_depctr 0xfff
	v_ldexp_f32 v53, v53, v54
	s_delay_alu instid0(VALU_DEP_1) | instskip(SKIP_1) | instid1(VALU_DEP_2)
	v_cndmask_b32_e32 v53, 0, v53, vcc_lo
	v_cmp_ngt_f32_e32 vcc_lo, 0xc2b17218, v52
	v_cndmask_b32_e32 v52, 0x7f800000, v53, vcc_lo
	s_delay_alu instid0(VALU_DEP_1)
	v_sub_f32_e32 v52, 1.0, v52
.LBB3_38:
	s_and_not1_saveexec_b32 s2, s2
; %bb.39:
	v_mul_f32_e32 v52, v51, v51
	s_mov_b32 s3, 0xba1345e1
	s_delay_alu instid0(VALU_DEP_1) | instid1(SALU_CYCLE_1)
	v_fmaak_f32 v53, s3, v52, 0x3ba10414
	s_delay_alu instid0(VALU_DEP_1) | instskip(NEXT) | instid1(VALU_DEP_1)
	v_fmaak_f32 v53, v52, v53, 0xbcdac9b8
	v_fmaak_f32 v53, v52, v53, 0x3de703be
	s_delay_alu instid0(VALU_DEP_1) | instskip(NEXT) | instid1(VALU_DEP_1)
	v_fmaak_f32 v53, v52, v53, 0xbec09330
	v_fmaak_f32 v52, v52, v53, 0x3e0375d0
	s_delay_alu instid0(VALU_DEP_1)
	v_fma_f32 v52, |v51|, v52, |v51|
; %bb.40:
	s_or_b32 exec_lo, exec_lo, s2
	v_mul_f32_e32 v53, 0x3f3504f3, v31
                                        ; implicit-def: $vgpr54
	s_delay_alu instid0(VALU_DEP_1) | instskip(NEXT) | instid1(VALU_DEP_1)
	v_cmp_nlt_f32_e64 s2, |v53|, 1.0
	s_and_saveexec_b32 s3, s2
	s_delay_alu instid0(SALU_CYCLE_1)
	s_xor_b32 s2, exec_lo, s3
	s_cbranch_execz .LBB3_42
; %bb.41:
	s_mov_b32 s3, 0x378e98ab
	s_delay_alu instid0(SALU_CYCLE_1) | instskip(NEXT) | instid1(VALU_DEP_1)
	v_fma_f32 v54, |v53|, s3, 0xb9c68948
	v_fma_f32 v54, |v53|, v54, 0x3b7cd369
	s_delay_alu instid0(VALU_DEP_1) | instskip(NEXT) | instid1(VALU_DEP_1)
	v_fma_f32 v54, |v53|, v54, 0xbcc618b2
	v_fma_f32 v54, |v53|, v54, 0x3dda74e4
	s_delay_alu instid0(VALU_DEP_1) | instskip(NEXT) | instid1(VALU_DEP_1)
	;; [unrolled: 3-line block ×3, first 2 shown]
	v_fma_f32 v54, |v53|, v54, |v53|
	v_mul_f32_e32 v55, 0xbfb8aa3b, v54
	v_cmp_nlt_f32_e32 vcc_lo, 0x42ce8ed0, v54
	s_delay_alu instid0(VALU_DEP_2) | instskip(SKIP_1) | instid1(VALU_DEP_1)
	v_fma_f32 v56, 0xbfb8aa3b, v54, -v55
	v_rndne_f32_e32 v57, v55
	v_dual_fmamk_f32 v56, v54, 0xb2a5705f, v56 :: v_dual_sub_f32 v55, v55, v57
	s_delay_alu instid0(VALU_DEP_1) | instskip(SKIP_1) | instid1(VALU_DEP_2)
	v_add_f32_e32 v55, v55, v56
	v_cvt_i32_f32_e32 v56, v57
	v_exp_f32_e32 v55, v55
	s_waitcnt_depctr 0xfff
	v_ldexp_f32 v55, v55, v56
	s_delay_alu instid0(VALU_DEP_1) | instskip(SKIP_1) | instid1(VALU_DEP_2)
	v_cndmask_b32_e32 v55, 0, v55, vcc_lo
	v_cmp_ngt_f32_e32 vcc_lo, 0xc2b17218, v54
	v_cndmask_b32_e32 v54, 0x7f800000, v55, vcc_lo
	s_delay_alu instid0(VALU_DEP_1)
	v_sub_f32_e32 v54, 1.0, v54
.LBB3_42:
	s_and_not1_saveexec_b32 s2, s2
; %bb.43:
	v_mul_f32_e32 v54, v53, v53
	s_mov_b32 s3, 0xba1345e1
	s_delay_alu instid0(VALU_DEP_1) | instid1(SALU_CYCLE_1)
	v_fmaak_f32 v55, s3, v54, 0x3ba10414
	s_delay_alu instid0(VALU_DEP_1) | instskip(NEXT) | instid1(VALU_DEP_1)
	v_fmaak_f32 v55, v54, v55, 0xbcdac9b8
	v_fmaak_f32 v55, v54, v55, 0x3de703be
	s_delay_alu instid0(VALU_DEP_1) | instskip(NEXT) | instid1(VALU_DEP_1)
	v_fmaak_f32 v55, v54, v55, 0xbec09330
	v_fmaak_f32 v54, v54, v55, 0x3e0375d0
	s_delay_alu instid0(VALU_DEP_1)
	v_fma_f32 v54, |v53|, v54, |v53|
; %bb.44:
	s_or_b32 exec_lo, exec_lo, s2
	v_mul_f32_e32 v55, 0x3f3504f3, v32
                                        ; implicit-def: $vgpr56
	s_delay_alu instid0(VALU_DEP_1) | instskip(NEXT) | instid1(VALU_DEP_1)
	v_cmp_nlt_f32_e64 s2, |v55|, 1.0
	s_and_saveexec_b32 s3, s2
	s_delay_alu instid0(SALU_CYCLE_1)
	s_xor_b32 s2, exec_lo, s3
	s_cbranch_execz .LBB3_46
; %bb.45:
	s_mov_b32 s3, 0x378e98ab
	s_delay_alu instid0(SALU_CYCLE_1) | instskip(NEXT) | instid1(VALU_DEP_1)
	v_fma_f32 v56, |v55|, s3, 0xb9c68948
	v_fma_f32 v56, |v55|, v56, 0x3b7cd369
	s_delay_alu instid0(VALU_DEP_1) | instskip(NEXT) | instid1(VALU_DEP_1)
	v_fma_f32 v56, |v55|, v56, 0xbcc618b2
	v_fma_f32 v56, |v55|, v56, 0x3dda74e4
	s_delay_alu instid0(VALU_DEP_1) | instskip(NEXT) | instid1(VALU_DEP_1)
	v_fma_f32 v56, |v55|, v56, 0x3f228afd
	v_fma_f32 v56, |v55|, v56, 0x3e03c728
	s_delay_alu instid0(VALU_DEP_1) | instskip(NEXT) | instid1(VALU_DEP_1)
	v_fma_f32 v56, |v55|, v56, |v55|
	v_mul_f32_e32 v57, 0xbfb8aa3b, v56
	v_cmp_nlt_f32_e32 vcc_lo, 0x42ce8ed0, v56
	s_delay_alu instid0(VALU_DEP_2) | instskip(SKIP_1) | instid1(VALU_DEP_1)
	v_fma_f32 v58, 0xbfb8aa3b, v56, -v57
	v_rndne_f32_e32 v59, v57
	v_dual_fmamk_f32 v58, v56, 0xb2a5705f, v58 :: v_dual_sub_f32 v57, v57, v59
	s_delay_alu instid0(VALU_DEP_1) | instskip(SKIP_1) | instid1(VALU_DEP_2)
	v_add_f32_e32 v57, v57, v58
	v_cvt_i32_f32_e32 v58, v59
	v_exp_f32_e32 v57, v57
	s_waitcnt_depctr 0xfff
	v_ldexp_f32 v57, v57, v58
	s_delay_alu instid0(VALU_DEP_1) | instskip(SKIP_1) | instid1(VALU_DEP_2)
	v_cndmask_b32_e32 v57, 0, v57, vcc_lo
	v_cmp_ngt_f32_e32 vcc_lo, 0xc2b17218, v56
	v_cndmask_b32_e32 v56, 0x7f800000, v57, vcc_lo
	s_delay_alu instid0(VALU_DEP_1)
	v_sub_f32_e32 v56, 1.0, v56
.LBB3_46:
	s_and_not1_saveexec_b32 s2, s2
; %bb.47:
	v_mul_f32_e32 v56, v55, v55
	s_mov_b32 s3, 0xba1345e1
	s_delay_alu instid0(VALU_DEP_1) | instid1(SALU_CYCLE_1)
	v_fmaak_f32 v57, s3, v56, 0x3ba10414
	s_delay_alu instid0(VALU_DEP_1) | instskip(NEXT) | instid1(VALU_DEP_1)
	v_fmaak_f32 v57, v56, v57, 0xbcdac9b8
	v_fmaak_f32 v57, v56, v57, 0x3de703be
	s_delay_alu instid0(VALU_DEP_1) | instskip(NEXT) | instid1(VALU_DEP_1)
	v_fmaak_f32 v57, v56, v57, 0xbec09330
	v_fmaak_f32 v56, v56, v57, 0x3e0375d0
	s_delay_alu instid0(VALU_DEP_1)
	v_fma_f32 v56, |v55|, v56, |v55|
; %bb.48:
	s_or_b32 exec_lo, exec_lo, s2
	v_mul_f32_e32 v57, 0x3f3504f3, v21
                                        ; implicit-def: $vgpr58
	s_delay_alu instid0(VALU_DEP_1) | instskip(NEXT) | instid1(VALU_DEP_1)
	v_cmp_nlt_f32_e64 s2, |v57|, 1.0
	s_and_saveexec_b32 s3, s2
	s_delay_alu instid0(SALU_CYCLE_1)
	s_xor_b32 s2, exec_lo, s3
	s_cbranch_execz .LBB3_50
; %bb.49:
	s_mov_b32 s3, 0x378e98ab
	s_delay_alu instid0(SALU_CYCLE_1) | instskip(NEXT) | instid1(VALU_DEP_1)
	v_fma_f32 v58, |v57|, s3, 0xb9c68948
	v_fma_f32 v58, |v57|, v58, 0x3b7cd369
	s_delay_alu instid0(VALU_DEP_1) | instskip(NEXT) | instid1(VALU_DEP_1)
	v_fma_f32 v58, |v57|, v58, 0xbcc618b2
	v_fma_f32 v58, |v57|, v58, 0x3dda74e4
	s_delay_alu instid0(VALU_DEP_1) | instskip(NEXT) | instid1(VALU_DEP_1)
	;; [unrolled: 3-line block ×3, first 2 shown]
	v_fma_f32 v58, |v57|, v58, |v57|
	v_mul_f32_e32 v59, 0xbfb8aa3b, v58
	v_cmp_nlt_f32_e32 vcc_lo, 0x42ce8ed0, v58
	s_delay_alu instid0(VALU_DEP_2) | instskip(SKIP_1) | instid1(VALU_DEP_1)
	v_fma_f32 v60, 0xbfb8aa3b, v58, -v59
	v_rndne_f32_e32 v61, v59
	v_dual_fmamk_f32 v60, v58, 0xb2a5705f, v60 :: v_dual_sub_f32 v59, v59, v61
	s_delay_alu instid0(VALU_DEP_1) | instskip(SKIP_1) | instid1(VALU_DEP_2)
	v_add_f32_e32 v59, v59, v60
	v_cvt_i32_f32_e32 v60, v61
	v_exp_f32_e32 v59, v59
	s_waitcnt_depctr 0xfff
	v_ldexp_f32 v59, v59, v60
	s_delay_alu instid0(VALU_DEP_1) | instskip(SKIP_1) | instid1(VALU_DEP_2)
	v_cndmask_b32_e32 v59, 0, v59, vcc_lo
	v_cmp_ngt_f32_e32 vcc_lo, 0xc2b17218, v58
	v_cndmask_b32_e32 v58, 0x7f800000, v59, vcc_lo
	s_delay_alu instid0(VALU_DEP_1)
	v_sub_f32_e32 v58, 1.0, v58
.LBB3_50:
	s_and_not1_saveexec_b32 s2, s2
; %bb.51:
	v_mul_f32_e32 v58, v57, v57
	s_mov_b32 s3, 0xba1345e1
	s_delay_alu instid0(VALU_DEP_1) | instid1(SALU_CYCLE_1)
	v_fmaak_f32 v59, s3, v58, 0x3ba10414
	s_delay_alu instid0(VALU_DEP_1) | instskip(NEXT) | instid1(VALU_DEP_1)
	v_fmaak_f32 v59, v58, v59, 0xbcdac9b8
	v_fmaak_f32 v59, v58, v59, 0x3de703be
	s_delay_alu instid0(VALU_DEP_1) | instskip(NEXT) | instid1(VALU_DEP_1)
	v_fmaak_f32 v59, v58, v59, 0xbec09330
	v_fmaak_f32 v58, v58, v59, 0x3e0375d0
	s_delay_alu instid0(VALU_DEP_1)
	v_fma_f32 v58, |v57|, v58, |v57|
; %bb.52:
	s_or_b32 exec_lo, exec_lo, s2
	v_mul_f32_e32 v60, 0x3f3504f3, v22
                                        ; implicit-def: $vgpr62
	s_delay_alu instid0(VALU_DEP_1) | instskip(NEXT) | instid1(VALU_DEP_1)
	v_cmp_nlt_f32_e64 s2, |v60|, 1.0
	s_and_saveexec_b32 s3, s2
	s_delay_alu instid0(SALU_CYCLE_1)
	s_xor_b32 s2, exec_lo, s3
	s_cbranch_execz .LBB3_54
; %bb.53:
	s_mov_b32 s3, 0x378e98ab
	s_delay_alu instid0(SALU_CYCLE_1) | instskip(NEXT) | instid1(VALU_DEP_1)
	v_fma_f32 v59, |v60|, s3, 0xb9c68948
	v_fma_f32 v59, |v60|, v59, 0x3b7cd369
	s_delay_alu instid0(VALU_DEP_1) | instskip(NEXT) | instid1(VALU_DEP_1)
	v_fma_f32 v59, |v60|, v59, 0xbcc618b2
	v_fma_f32 v59, |v60|, v59, 0x3dda74e4
	s_delay_alu instid0(VALU_DEP_1) | instskip(NEXT) | instid1(VALU_DEP_1)
	;; [unrolled: 3-line block ×3, first 2 shown]
	v_fma_f32 v59, |v60|, v59, |v60|
	v_mul_f32_e32 v61, 0xbfb8aa3b, v59
	v_cmp_nlt_f32_e32 vcc_lo, 0x42ce8ed0, v59
	s_delay_alu instid0(VALU_DEP_2) | instskip(SKIP_1) | instid1(VALU_DEP_1)
	v_fma_f32 v62, 0xbfb8aa3b, v59, -v61
	v_rndne_f32_e32 v63, v61
	v_dual_fmamk_f32 v62, v59, 0xb2a5705f, v62 :: v_dual_sub_f32 v61, v61, v63
	s_delay_alu instid0(VALU_DEP_1) | instskip(SKIP_1) | instid1(VALU_DEP_2)
	v_add_f32_e32 v61, v61, v62
	v_cvt_i32_f32_e32 v62, v63
	v_exp_f32_e32 v61, v61
	s_waitcnt_depctr 0xfff
	v_ldexp_f32 v61, v61, v62
	s_delay_alu instid0(VALU_DEP_1) | instskip(SKIP_1) | instid1(VALU_DEP_2)
	v_cndmask_b32_e32 v61, 0, v61, vcc_lo
	v_cmp_ngt_f32_e32 vcc_lo, 0xc2b17218, v59
	v_cndmask_b32_e32 v59, 0x7f800000, v61, vcc_lo
	s_delay_alu instid0(VALU_DEP_1)
	v_sub_f32_e32 v62, 1.0, v59
.LBB3_54:
	s_and_not1_saveexec_b32 s2, s2
; %bb.55:
	v_mul_f32_e32 v59, v60, v60
	s_mov_b32 s3, 0xba1345e1
	s_delay_alu instid0(VALU_DEP_1) | instid1(SALU_CYCLE_1)
	v_fmaak_f32 v61, s3, v59, 0x3ba10414
	s_delay_alu instid0(VALU_DEP_1) | instskip(NEXT) | instid1(VALU_DEP_1)
	v_fmaak_f32 v61, v59, v61, 0xbcdac9b8
	v_fmaak_f32 v61, v59, v61, 0x3de703be
	s_delay_alu instid0(VALU_DEP_1) | instskip(NEXT) | instid1(VALU_DEP_1)
	v_fmaak_f32 v61, v59, v61, 0xbec09330
	v_fmaak_f32 v59, v59, v61, 0x3e0375d0
	s_delay_alu instid0(VALU_DEP_1)
	v_fma_f32 v62, |v60|, v59, |v60|
; %bb.56:
	s_or_b32 exec_lo, exec_lo, s2
	v_mul_f32_e32 v63, 0x3f3504f3, v23
                                        ; implicit-def: $vgpr64
	s_delay_alu instid0(VALU_DEP_1) | instskip(NEXT) | instid1(VALU_DEP_1)
	v_cmp_nlt_f32_e64 s2, |v63|, 1.0
	s_and_saveexec_b32 s3, s2
	s_delay_alu instid0(SALU_CYCLE_1)
	s_xor_b32 s2, exec_lo, s3
	s_cbranch_execz .LBB3_58
; %bb.57:
	s_mov_b32 s3, 0x378e98ab
	s_delay_alu instid0(SALU_CYCLE_1) | instskip(NEXT) | instid1(VALU_DEP_1)
	v_fma_f32 v59, |v63|, s3, 0xb9c68948
	v_fma_f32 v59, |v63|, v59, 0x3b7cd369
	s_delay_alu instid0(VALU_DEP_1) | instskip(NEXT) | instid1(VALU_DEP_1)
	v_fma_f32 v59, |v63|, v59, 0xbcc618b2
	v_fma_f32 v59, |v63|, v59, 0x3dda74e4
	s_delay_alu instid0(VALU_DEP_1) | instskip(NEXT) | instid1(VALU_DEP_1)
	;; [unrolled: 3-line block ×3, first 2 shown]
	v_fma_f32 v59, |v63|, v59, |v63|
	v_mul_f32_e32 v61, 0xbfb8aa3b, v59
	v_cmp_nlt_f32_e32 vcc_lo, 0x42ce8ed0, v59
	s_delay_alu instid0(VALU_DEP_2) | instskip(SKIP_1) | instid1(VALU_DEP_1)
	v_fma_f32 v64, 0xbfb8aa3b, v59, -v61
	v_rndne_f32_e32 v65, v61
	v_dual_fmamk_f32 v64, v59, 0xb2a5705f, v64 :: v_dual_sub_f32 v61, v61, v65
	s_delay_alu instid0(VALU_DEP_1) | instskip(SKIP_1) | instid1(VALU_DEP_2)
	v_add_f32_e32 v61, v61, v64
	v_cvt_i32_f32_e32 v64, v65
	v_exp_f32_e32 v61, v61
	s_waitcnt_depctr 0xfff
	v_ldexp_f32 v61, v61, v64
	s_delay_alu instid0(VALU_DEP_1) | instskip(SKIP_1) | instid1(VALU_DEP_2)
	v_cndmask_b32_e32 v61, 0, v61, vcc_lo
	v_cmp_ngt_f32_e32 vcc_lo, 0xc2b17218, v59
	v_cndmask_b32_e32 v59, 0x7f800000, v61, vcc_lo
	s_delay_alu instid0(VALU_DEP_1)
	v_sub_f32_e32 v64, 1.0, v59
.LBB3_58:
	s_and_not1_saveexec_b32 s2, s2
; %bb.59:
	v_mul_f32_e32 v59, v63, v63
	s_mov_b32 s3, 0xba1345e1
	s_delay_alu instid0(VALU_DEP_1) | instid1(SALU_CYCLE_1)
	v_fmaak_f32 v61, s3, v59, 0x3ba10414
	s_delay_alu instid0(VALU_DEP_1) | instskip(NEXT) | instid1(VALU_DEP_1)
	v_fmaak_f32 v61, v59, v61, 0xbcdac9b8
	v_fmaak_f32 v61, v59, v61, 0x3de703be
	s_delay_alu instid0(VALU_DEP_1) | instskip(NEXT) | instid1(VALU_DEP_1)
	v_fmaak_f32 v61, v59, v61, 0xbec09330
	v_fmaak_f32 v59, v59, v61, 0x3e0375d0
	s_delay_alu instid0(VALU_DEP_1)
	v_fma_f32 v64, |v63|, v59, |v63|
; %bb.60:
	s_or_b32 exec_lo, exec_lo, s2
	v_mul_f32_e32 v59, 0x3f3504f3, v24
	v_lshlrev_b32_e32 v0, 3, v0
                                        ; implicit-def: $vgpr61
	s_delay_alu instid0(VALU_DEP_2) | instskip(NEXT) | instid1(VALU_DEP_1)
	v_cmp_nlt_f32_e64 s2, |v59|, 1.0
	s_and_saveexec_b32 s3, s2
	s_delay_alu instid0(SALU_CYCLE_1)
	s_xor_b32 s2, exec_lo, s3
	s_cbranch_execz .LBB3_62
; %bb.61:
	s_mov_b32 s3, 0x378e98ab
	s_delay_alu instid0(SALU_CYCLE_1) | instskip(NEXT) | instid1(VALU_DEP_1)
	v_fma_f32 v61, |v59|, s3, 0xb9c68948
	v_fma_f32 v61, |v59|, v61, 0x3b7cd369
	s_delay_alu instid0(VALU_DEP_1) | instskip(NEXT) | instid1(VALU_DEP_1)
	v_fma_f32 v61, |v59|, v61, 0xbcc618b2
	v_fma_f32 v61, |v59|, v61, 0x3dda74e4
	s_delay_alu instid0(VALU_DEP_1) | instskip(NEXT) | instid1(VALU_DEP_1)
	;; [unrolled: 3-line block ×3, first 2 shown]
	v_fma_f32 v61, |v59|, v61, |v59|
	v_mul_f32_e32 v65, 0xbfb8aa3b, v61
	v_cmp_nlt_f32_e32 vcc_lo, 0x42ce8ed0, v61
	s_delay_alu instid0(VALU_DEP_2) | instskip(SKIP_1) | instid1(VALU_DEP_2)
	v_fma_f32 v66, 0xbfb8aa3b, v61, -v65
	v_rndne_f32_e32 v67, v65
	v_fmamk_f32 v66, v61, 0xb2a5705f, v66
	s_delay_alu instid0(VALU_DEP_2) | instskip(NEXT) | instid1(VALU_DEP_1)
	v_sub_f32_e32 v65, v65, v67
	v_add_f32_e32 v65, v65, v66
	v_cvt_i32_f32_e32 v66, v67
	s_delay_alu instid0(VALU_DEP_2) | instskip(SKIP_2) | instid1(VALU_DEP_1)
	v_exp_f32_e32 v65, v65
	s_waitcnt_depctr 0xfff
	v_ldexp_f32 v65, v65, v66
	v_cndmask_b32_e32 v65, 0, v65, vcc_lo
	v_cmp_ngt_f32_e32 vcc_lo, 0xc2b17218, v61
	s_delay_alu instid0(VALU_DEP_2) | instskip(NEXT) | instid1(VALU_DEP_1)
	v_cndmask_b32_e32 v61, 0x7f800000, v65, vcc_lo
	v_sub_f32_e32 v61, 1.0, v61
.LBB3_62:
	s_and_not1_saveexec_b32 s2, s2
; %bb.63:
	v_mul_f32_e32 v61, v59, v59
	s_mov_b32 s3, 0xba1345e1
	s_delay_alu instid0(VALU_DEP_1) | instid1(SALU_CYCLE_1)
	v_fmaak_f32 v65, s3, v61, 0x3ba10414
	s_delay_alu instid0(VALU_DEP_1) | instskip(NEXT) | instid1(VALU_DEP_1)
	v_fmaak_f32 v65, v61, v65, 0xbcdac9b8
	v_fmaak_f32 v65, v61, v65, 0x3de703be
	s_delay_alu instid0(VALU_DEP_1) | instskip(NEXT) | instid1(VALU_DEP_1)
	v_fmaak_f32 v65, v61, v65, 0xbec09330
	v_fmaak_f32 v61, v61, v65, 0x3e0375d0
	s_delay_alu instid0(VALU_DEP_1)
	v_fma_f32 v61, |v59|, v61, |v59|
; %bb.64:
	s_or_b32 exec_lo, exec_lo, s2
	v_bfi_b32 v63, 0x7fffffff, v64, v63
	v_dual_mul_f32 v23, 0.5, v23 :: v_dual_mul_f32 v22, 0.5, v22
	v_bfi_b32 v60, 0x7fffffff, v62, v60
	s_delay_alu instid0(VALU_DEP_3) | instskip(SKIP_3) | instid1(VALU_DEP_4)
	v_dual_mul_f32 v21, 0.5, v21 :: v_dual_add_f32 v62, 1.0, v63
	v_bfi_b32 v57, 0x7fffffff, v58, v57
	v_mul_f32_e32 v32, 0.5, v32
	v_bfi_b32 v55, 0x7fffffff, v56, v55
	v_dual_add_f32 v58, 1.0, v60 :: v_dual_mul_f32 v23, v23, v62
	v_bfi_b32 v53, 0x7fffffff, v54, v53
	s_delay_alu instid0(VALU_DEP_3) | instskip(NEXT) | instid1(VALU_DEP_3)
	v_dual_add_f32 v54, 1.0, v57 :: v_dual_add_f32 v55, 1.0, v55
	v_dual_mul_f32 v22, v22, v58 :: v_dual_mul_f32 v7, v7, v23
	v_mul_f32_e32 v23, 0.5, v31
	s_delay_alu instid0(VALU_DEP_4) | instskip(NEXT) | instid1(VALU_DEP_4)
	v_add_f32_e32 v31, 1.0, v53
	v_dual_mul_f32 v21, v21, v54 :: v_dual_mul_f32 v32, v32, v55
	s_delay_alu instid0(VALU_DEP_4) | instskip(SKIP_1) | instid1(VALU_DEP_4)
	v_mul_f32_e32 v6, v6, v22
	v_bfi_b32 v22, 0x7fffffff, v52, v51
	v_dual_mul_f32 v23, v23, v31 :: v_dual_mul_f32 v30, 0.5, v30
	s_delay_alu instid0(VALU_DEP_4) | instskip(NEXT) | instid1(VALU_DEP_2)
	v_dual_mul_f32 v5, v5, v21 :: v_dual_mul_f32 v16, v16, v32
	v_dual_add_f32 v22, 1.0, v22 :: v_dual_mul_f32 v15, v15, v23
	v_bfi_b32 v21, 0x7fffffff, v48, v47
	v_bfi_b32 v23, 0x7fffffff, v46, v45
	v_dual_mul_f32 v28, 0.5, v28 :: v_dual_mul_f32 v27, 0.5, v27
	s_delay_alu instid0(VALU_DEP_3) | instskip(SKIP_1) | instid1(VALU_DEP_4)
	v_dual_mul_f32 v22, v30, v22 :: v_dual_add_f32 v21, 1.0, v21
	v_bfi_b32 v30, 0x7fffffff, v50, v49
	v_add_f32_e32 v23, 1.0, v23
	v_bfi_b32 v31, 0x7fffffff, v44, v43
	v_dual_mul_f32 v29, 0.5, v29 :: v_dual_mul_f32 v26, 0.5, v26
	s_delay_alu instid0(VALU_DEP_4) | instskip(NEXT) | instid1(VALU_DEP_4)
	v_dual_add_f32 v30, 1.0, v30 :: v_dual_mul_f32 v21, v28, v21
	v_dual_mul_f32 v14, v14, v22 :: v_dual_mul_f32 v23, v27, v23
	s_delay_alu instid0(VALU_DEP_2) | instskip(NEXT) | instid1(VALU_DEP_3)
	v_dual_add_f32 v27, 1.0, v31 :: v_dual_mul_f32 v28, v29, v30
	v_mul_f32_e32 v4, v4, v21
	s_delay_alu instid0(VALU_DEP_3) | instskip(NEXT) | instid1(VALU_DEP_3)
	v_dual_mul_f32 v22, 0.5, v25 :: v_dual_mul_f32 v3, v3, v23
	v_dual_mul_f32 v21, v26, v27 :: v_dual_mul_f32 v20, 0.5, v20
	v_bfi_b32 v23, 0x7fffffff, v40, v39
	v_bfi_b32 v26, 0x7fffffff, v38, v37
	v_bfi_b32 v27, 0x7fffffff, v36, v35
	v_bfi_b32 v25, 0x7fffffff, v42, v41
	v_dual_mul_f32 v19, 0.5, v19 :: v_dual_mul_f32 v18, 0.5, v18
	s_delay_alu instid0(VALU_DEP_4) | instskip(NEXT) | instid1(VALU_DEP_4)
	v_dual_add_f32 v23, 1.0, v23 :: v_dual_add_f32 v26, 1.0, v26
	v_dual_add_f32 v27, 1.0, v27 :: v_dual_mul_f32 v2, v2, v21
	s_delay_alu instid0(VALU_DEP_2) | instskip(NEXT) | instid1(VALU_DEP_2)
	v_dual_add_f32 v25, 1.0, v25 :: v_dual_mul_f32 v20, v20, v23
	v_dual_mul_f32 v19, v19, v26 :: v_dual_mul_f32 v18, v18, v27
	v_mul_f32_e32 v13, v13, v28
	s_delay_alu instid0(VALU_DEP_3) | instskip(NEXT) | instid1(VALU_DEP_3)
	v_dual_mul_f32 v23, v22, v25 :: v_dual_mul_f32 v12, v12, v20
	v_dual_mul_f32 v11, v11, v19 :: v_dual_mul_f32 v10, v10, v18
	v_bfi_b32 v19, 0x7fffffff, v34, v33
	s_delay_alu instid0(VALU_DEP_3) | instskip(SKIP_1) | instid1(VALU_DEP_3)
	v_dual_mul_f32 v1, v1, v23 :: v_dual_lshlrev_b32 v0, 2, v0
	v_bfi_b32 v18, 0x7fffffff, v61, v59
	v_dual_mul_f32 v20, 0.5, v17 :: v_dual_add_f32 v19, 1.0, v19
	s_delay_alu instid0(VALU_DEP_3) | instskip(NEXT) | instid1(VALU_DEP_3)
	v_add_co_u32 v17, s0, s0, v0
	v_dual_mul_f32 v21, 0.5, v24 :: v_dual_add_f32 v22, 1.0, v18
	v_add_co_ci_u32_e64 v18, null, s1, 0, s0
	s_delay_alu instid0(VALU_DEP_4) | instskip(SKIP_1) | instid1(VALU_DEP_3)
	v_mul_f32_e32 v0, v20, v19
	s_lshl_b32 s0, s15, 1
	v_mul_f32_e32 v24, v21, v22
	s_delay_alu instid0(VALU_DEP_3)
	v_mad_i64_i32 v[19:20], null, 0x1400, s0, v[17:18]
	s_or_b32 s0, s0, 1
	v_mul_f32_e32 v9, v9, v0
	v_mad_i64_i32 v[21:22], null, 0x1400, s0, v[17:18]
	v_mul_f32_e32 v8, v8, v24
	s_clause 0x3
	global_store_b128 v[19:20], v[9:12], off
	global_store_b128 v[19:20], v[1:4], off offset:16
	global_store_b128 v[21:22], v[13:16], off
	global_store_b128 v[21:22], v[5:8], off offset:16
	s_nop 0
	s_sendmsg sendmsg(MSG_DEALLOC_VGPRS)
	s_endpgm
	.section	.rodata,"a",@progbits
	.p2align	6, 0x0
	.amdhsa_kernel _Z12geglu_kernelIffLi160ELi1280ELi8ELi2EEvPT_PKS0_
		.amdhsa_group_segment_fixed_size 0
		.amdhsa_private_segment_fixed_size 0
		.amdhsa_kernarg_size 16
		.amdhsa_user_sgpr_count 15
		.amdhsa_user_sgpr_dispatch_ptr 0
		.amdhsa_user_sgpr_queue_ptr 0
		.amdhsa_user_sgpr_kernarg_segment_ptr 1
		.amdhsa_user_sgpr_dispatch_id 0
		.amdhsa_user_sgpr_private_segment_size 0
		.amdhsa_wavefront_size32 1
		.amdhsa_uses_dynamic_stack 0
		.amdhsa_enable_private_segment 0
		.amdhsa_system_sgpr_workgroup_id_x 1
		.amdhsa_system_sgpr_workgroup_id_y 0
		.amdhsa_system_sgpr_workgroup_id_z 0
		.amdhsa_system_sgpr_workgroup_info 0
		.amdhsa_system_vgpr_workitem_id 0
		.amdhsa_next_free_vgpr 68
		.amdhsa_next_free_sgpr 16
		.amdhsa_reserve_vcc 1
		.amdhsa_float_round_mode_32 0
		.amdhsa_float_round_mode_16_64 0
		.amdhsa_float_denorm_mode_32 3
		.amdhsa_float_denorm_mode_16_64 3
		.amdhsa_dx10_clamp 1
		.amdhsa_ieee_mode 1
		.amdhsa_fp16_overflow 0
		.amdhsa_workgroup_processor_mode 1
		.amdhsa_memory_ordered 1
		.amdhsa_forward_progress 0
		.amdhsa_shared_vgpr_count 0
		.amdhsa_exception_fp_ieee_invalid_op 0
		.amdhsa_exception_fp_denorm_src 0
		.amdhsa_exception_fp_ieee_div_zero 0
		.amdhsa_exception_fp_ieee_overflow 0
		.amdhsa_exception_fp_ieee_underflow 0
		.amdhsa_exception_fp_ieee_inexact 0
		.amdhsa_exception_int_div_zero 0
	.end_amdhsa_kernel
	.section	.text._Z12geglu_kernelIffLi160ELi1280ELi8ELi2EEvPT_PKS0_,"axG",@progbits,_Z12geglu_kernelIffLi160ELi1280ELi8ELi2EEvPT_PKS0_,comdat
.Lfunc_end3:
	.size	_Z12geglu_kernelIffLi160ELi1280ELi8ELi2EEvPT_PKS0_, .Lfunc_end3-_Z12geglu_kernelIffLi160ELi1280ELi8ELi2EEvPT_PKS0_
                                        ; -- End function
	.section	.AMDGPU.csdata,"",@progbits
; Kernel info:
; codeLenInByte = 6112
; NumSgprs: 18
; NumVgprs: 68
; ScratchSize: 0
; MemoryBound: 0
; FloatMode: 240
; IeeeMode: 1
; LDSByteSize: 0 bytes/workgroup (compile time only)
; SGPRBlocks: 2
; VGPRBlocks: 8
; NumSGPRsForWavesPerEU: 18
; NumVGPRsForWavesPerEU: 68
; Occupancy: 16
; WaveLimiterHint : 0
; COMPUTE_PGM_RSRC2:SCRATCH_EN: 0
; COMPUTE_PGM_RSRC2:USER_SGPR: 15
; COMPUTE_PGM_RSRC2:TRAP_HANDLER: 0
; COMPUTE_PGM_RSRC2:TGID_X_EN: 1
; COMPUTE_PGM_RSRC2:TGID_Y_EN: 0
; COMPUTE_PGM_RSRC2:TGID_Z_EN: 0
; COMPUTE_PGM_RSRC2:TIDIG_COMP_CNT: 0
	.section	.text._Z12geglu_kernelIffLi160ELi2560ELi8ELi2EEvPT_PKS0_,"axG",@progbits,_Z12geglu_kernelIffLi160ELi2560ELi8ELi2EEvPT_PKS0_,comdat
	.protected	_Z12geglu_kernelIffLi160ELi2560ELi8ELi2EEvPT_PKS0_ ; -- Begin function _Z12geglu_kernelIffLi160ELi2560ELi8ELi2EEvPT_PKS0_
	.globl	_Z12geglu_kernelIffLi160ELi2560ELi8ELi2EEvPT_PKS0_
	.p2align	8
	.type	_Z12geglu_kernelIffLi160ELi2560ELi8ELi2EEvPT_PKS0_,@function
_Z12geglu_kernelIffLi160ELi2560ELi8ELi2EEvPT_PKS0_: ; @_Z12geglu_kernelIffLi160ELi2560ELi8ELi2EEvPT_PKS0_
; %bb.0:
	s_load_b128 s[0:3], s[0:1], 0x0
	v_lshlrev_b32_e32 v9, 5, v0
	s_lshl_b32 s6, s15, 1
	s_mul_i32 s4, s15, 0x5000
	s_mul_hi_u32 s5, s6, 0x2800
                                        ; implicit-def: $vgpr34
	s_waitcnt lgkmcnt(0)
	s_add_u32 s4, s2, s4
	s_addc_u32 s5, s3, s5
	s_or_b32 s6, s6, 1
	v_add_co_u32 v3, s8, s4, v9
	s_mul_hi_u32 s7, s6, 0x2800
	s_mulk_i32 s6, 0x2800
	v_add_co_ci_u32_e64 v4, null, s5, 0, s8
	s_add_u32 s2, s2, s6
	v_add_co_u32 v1, vcc_lo, 0x1400, v3
	s_addc_u32 s3, s3, s7
	v_add_co_u32 v10, s6, s2, v9
	v_add_co_ci_u32_e32 v2, vcc_lo, 0, v4, vcc_lo
	v_add_co_ci_u32_e64 v11, null, s3, 0, s6
	v_add_co_u32 v3, vcc_lo, 0x1000, v3
	v_add_co_ci_u32_e32 v4, vcc_lo, 0, v4, vcc_lo
	s_clause 0x1
	global_load_b128 v[17:20], v9, s[2:3] offset:16
	global_load_b128 v[5:8], v9, s[2:3]
	v_add_co_u32 v13, vcc_lo, 0x1400, v10
	v_add_co_ci_u32_e32 v14, vcc_lo, 0, v11, vcc_lo
	v_add_co_u32 v15, vcc_lo, 0x1000, v10
	v_add_co_ci_u32_e32 v16, vcc_lo, 0, v11, vcc_lo
	s_clause 0x5
	global_load_b128 v[21:24], v9, s[4:5] offset:16
	global_load_b128 v[9:12], v9, s[4:5]
	global_load_b128 v[25:28], v[3:4], off offset:1024
	global_load_b128 v[1:4], v[1:2], off offset:16
	;; [unrolled: 1-line block ×4, first 2 shown]
	s_waitcnt vmcnt(6)
	v_mul_f32_e32 v33, 0x3f3504f3, v5
	s_delay_alu instid0(VALU_DEP_1) | instskip(NEXT) | instid1(VALU_DEP_1)
	v_cmp_nlt_f32_e64 s2, |v33|, 1.0
	s_and_saveexec_b32 s3, s2
	s_delay_alu instid0(SALU_CYCLE_1)
	s_xor_b32 s2, exec_lo, s3
	s_cbranch_execz .LBB4_2
; %bb.1:
	s_mov_b32 s3, 0x378e98ab
	s_delay_alu instid0(SALU_CYCLE_1) | instskip(NEXT) | instid1(VALU_DEP_1)
	v_fma_f32 v34, |v33|, s3, 0xb9c68948
	v_fma_f32 v34, |v33|, v34, 0x3b7cd369
	s_delay_alu instid0(VALU_DEP_1) | instskip(NEXT) | instid1(VALU_DEP_1)
	v_fma_f32 v34, |v33|, v34, 0xbcc618b2
	v_fma_f32 v34, |v33|, v34, 0x3dda74e4
	s_delay_alu instid0(VALU_DEP_1) | instskip(NEXT) | instid1(VALU_DEP_1)
	;; [unrolled: 3-line block ×3, first 2 shown]
	v_fma_f32 v34, |v33|, v34, |v33|
	v_mul_f32_e32 v35, 0xbfb8aa3b, v34
	v_cmp_nlt_f32_e32 vcc_lo, 0x42ce8ed0, v34
	s_delay_alu instid0(VALU_DEP_2) | instskip(SKIP_1) | instid1(VALU_DEP_1)
	v_fma_f32 v36, 0xbfb8aa3b, v34, -v35
	v_rndne_f32_e32 v37, v35
	v_dual_fmamk_f32 v36, v34, 0xb2a5705f, v36 :: v_dual_sub_f32 v35, v35, v37
	s_delay_alu instid0(VALU_DEP_1) | instskip(SKIP_1) | instid1(VALU_DEP_2)
	v_add_f32_e32 v35, v35, v36
	v_cvt_i32_f32_e32 v36, v37
	v_exp_f32_e32 v35, v35
	s_waitcnt_depctr 0xfff
	v_ldexp_f32 v35, v35, v36
	s_delay_alu instid0(VALU_DEP_1) | instskip(SKIP_1) | instid1(VALU_DEP_2)
	v_cndmask_b32_e32 v35, 0, v35, vcc_lo
	v_cmp_ngt_f32_e32 vcc_lo, 0xc2b17218, v34
	v_cndmask_b32_e32 v34, 0x7f800000, v35, vcc_lo
	s_delay_alu instid0(VALU_DEP_1)
	v_sub_f32_e32 v34, 1.0, v34
.LBB4_2:
	s_and_not1_saveexec_b32 s2, s2
; %bb.3:
	v_mul_f32_e32 v34, v33, v33
	s_mov_b32 s3, 0xba1345e1
	s_delay_alu instid0(VALU_DEP_1) | instid1(SALU_CYCLE_1)
	v_fmaak_f32 v35, s3, v34, 0x3ba10414
	s_delay_alu instid0(VALU_DEP_1) | instskip(NEXT) | instid1(VALU_DEP_1)
	v_fmaak_f32 v35, v34, v35, 0xbcdac9b8
	v_fmaak_f32 v35, v34, v35, 0x3de703be
	s_delay_alu instid0(VALU_DEP_1) | instskip(NEXT) | instid1(VALU_DEP_1)
	v_fmaak_f32 v35, v34, v35, 0xbec09330
	v_fmaak_f32 v34, v34, v35, 0x3e0375d0
	s_delay_alu instid0(VALU_DEP_1)
	v_fma_f32 v34, |v33|, v34, |v33|
; %bb.4:
	s_or_b32 exec_lo, exec_lo, s2
	v_mul_f32_e32 v35, 0x3f3504f3, v6
                                        ; implicit-def: $vgpr36
	s_delay_alu instid0(VALU_DEP_1) | instskip(NEXT) | instid1(VALU_DEP_1)
	v_cmp_nlt_f32_e64 s2, |v35|, 1.0
	s_and_saveexec_b32 s3, s2
	s_delay_alu instid0(SALU_CYCLE_1)
	s_xor_b32 s2, exec_lo, s3
	s_cbranch_execz .LBB4_6
; %bb.5:
	s_mov_b32 s3, 0x378e98ab
	s_delay_alu instid0(SALU_CYCLE_1) | instskip(NEXT) | instid1(VALU_DEP_1)
	v_fma_f32 v36, |v35|, s3, 0xb9c68948
	v_fma_f32 v36, |v35|, v36, 0x3b7cd369
	s_delay_alu instid0(VALU_DEP_1) | instskip(NEXT) | instid1(VALU_DEP_1)
	v_fma_f32 v36, |v35|, v36, 0xbcc618b2
	v_fma_f32 v36, |v35|, v36, 0x3dda74e4
	s_delay_alu instid0(VALU_DEP_1) | instskip(NEXT) | instid1(VALU_DEP_1)
	;; [unrolled: 3-line block ×3, first 2 shown]
	v_fma_f32 v36, |v35|, v36, |v35|
	v_mul_f32_e32 v37, 0xbfb8aa3b, v36
	v_cmp_nlt_f32_e32 vcc_lo, 0x42ce8ed0, v36
	s_delay_alu instid0(VALU_DEP_2) | instskip(SKIP_1) | instid1(VALU_DEP_1)
	v_fma_f32 v38, 0xbfb8aa3b, v36, -v37
	v_rndne_f32_e32 v39, v37
	v_dual_fmamk_f32 v38, v36, 0xb2a5705f, v38 :: v_dual_sub_f32 v37, v37, v39
	s_delay_alu instid0(VALU_DEP_1) | instskip(SKIP_1) | instid1(VALU_DEP_2)
	v_add_f32_e32 v37, v37, v38
	v_cvt_i32_f32_e32 v38, v39
	v_exp_f32_e32 v37, v37
	s_waitcnt_depctr 0xfff
	v_ldexp_f32 v37, v37, v38
	s_delay_alu instid0(VALU_DEP_1) | instskip(SKIP_1) | instid1(VALU_DEP_2)
	v_cndmask_b32_e32 v37, 0, v37, vcc_lo
	v_cmp_ngt_f32_e32 vcc_lo, 0xc2b17218, v36
	v_cndmask_b32_e32 v36, 0x7f800000, v37, vcc_lo
	s_delay_alu instid0(VALU_DEP_1)
	v_sub_f32_e32 v36, 1.0, v36
.LBB4_6:
	s_and_not1_saveexec_b32 s2, s2
; %bb.7:
	v_mul_f32_e32 v36, v35, v35
	s_mov_b32 s3, 0xba1345e1
	s_delay_alu instid0(VALU_DEP_1) | instid1(SALU_CYCLE_1)
	v_fmaak_f32 v37, s3, v36, 0x3ba10414
	s_delay_alu instid0(VALU_DEP_1) | instskip(NEXT) | instid1(VALU_DEP_1)
	v_fmaak_f32 v37, v36, v37, 0xbcdac9b8
	v_fmaak_f32 v37, v36, v37, 0x3de703be
	s_delay_alu instid0(VALU_DEP_1) | instskip(NEXT) | instid1(VALU_DEP_1)
	v_fmaak_f32 v37, v36, v37, 0xbec09330
	v_fmaak_f32 v36, v36, v37, 0x3e0375d0
	s_delay_alu instid0(VALU_DEP_1)
	v_fma_f32 v36, |v35|, v36, |v35|
; %bb.8:
	s_or_b32 exec_lo, exec_lo, s2
	v_mul_f32_e32 v37, 0x3f3504f3, v7
                                        ; implicit-def: $vgpr38
	s_delay_alu instid0(VALU_DEP_1) | instskip(NEXT) | instid1(VALU_DEP_1)
	v_cmp_nlt_f32_e64 s2, |v37|, 1.0
	s_and_saveexec_b32 s3, s2
	s_delay_alu instid0(SALU_CYCLE_1)
	s_xor_b32 s2, exec_lo, s3
	s_cbranch_execz .LBB4_10
; %bb.9:
	s_mov_b32 s3, 0x378e98ab
	s_delay_alu instid0(SALU_CYCLE_1) | instskip(NEXT) | instid1(VALU_DEP_1)
	v_fma_f32 v38, |v37|, s3, 0xb9c68948
	v_fma_f32 v38, |v37|, v38, 0x3b7cd369
	s_delay_alu instid0(VALU_DEP_1) | instskip(NEXT) | instid1(VALU_DEP_1)
	v_fma_f32 v38, |v37|, v38, 0xbcc618b2
	v_fma_f32 v38, |v37|, v38, 0x3dda74e4
	s_delay_alu instid0(VALU_DEP_1) | instskip(NEXT) | instid1(VALU_DEP_1)
	;; [unrolled: 3-line block ×3, first 2 shown]
	v_fma_f32 v38, |v37|, v38, |v37|
	v_mul_f32_e32 v39, 0xbfb8aa3b, v38
	v_cmp_nlt_f32_e32 vcc_lo, 0x42ce8ed0, v38
	s_delay_alu instid0(VALU_DEP_2) | instskip(SKIP_1) | instid1(VALU_DEP_1)
	v_fma_f32 v40, 0xbfb8aa3b, v38, -v39
	v_rndne_f32_e32 v41, v39
	v_dual_fmamk_f32 v40, v38, 0xb2a5705f, v40 :: v_dual_sub_f32 v39, v39, v41
	s_delay_alu instid0(VALU_DEP_1) | instskip(SKIP_1) | instid1(VALU_DEP_2)
	v_add_f32_e32 v39, v39, v40
	v_cvt_i32_f32_e32 v40, v41
	v_exp_f32_e32 v39, v39
	s_waitcnt_depctr 0xfff
	v_ldexp_f32 v39, v39, v40
	s_delay_alu instid0(VALU_DEP_1) | instskip(SKIP_1) | instid1(VALU_DEP_2)
	v_cndmask_b32_e32 v39, 0, v39, vcc_lo
	v_cmp_ngt_f32_e32 vcc_lo, 0xc2b17218, v38
	v_cndmask_b32_e32 v38, 0x7f800000, v39, vcc_lo
	s_delay_alu instid0(VALU_DEP_1)
	v_sub_f32_e32 v38, 1.0, v38
.LBB4_10:
	s_and_not1_saveexec_b32 s2, s2
; %bb.11:
	v_mul_f32_e32 v38, v37, v37
	s_mov_b32 s3, 0xba1345e1
	s_delay_alu instid0(VALU_DEP_1) | instid1(SALU_CYCLE_1)
	v_fmaak_f32 v39, s3, v38, 0x3ba10414
	s_delay_alu instid0(VALU_DEP_1) | instskip(NEXT) | instid1(VALU_DEP_1)
	v_fmaak_f32 v39, v38, v39, 0xbcdac9b8
	v_fmaak_f32 v39, v38, v39, 0x3de703be
	s_delay_alu instid0(VALU_DEP_1) | instskip(NEXT) | instid1(VALU_DEP_1)
	v_fmaak_f32 v39, v38, v39, 0xbec09330
	v_fmaak_f32 v38, v38, v39, 0x3e0375d0
	s_delay_alu instid0(VALU_DEP_1)
	v_fma_f32 v38, |v37|, v38, |v37|
; %bb.12:
	s_or_b32 exec_lo, exec_lo, s2
	v_mul_f32_e32 v39, 0x3f3504f3, v8
                                        ; implicit-def: $vgpr40
	s_delay_alu instid0(VALU_DEP_1) | instskip(NEXT) | instid1(VALU_DEP_1)
	v_cmp_nlt_f32_e64 s2, |v39|, 1.0
	s_and_saveexec_b32 s3, s2
	s_delay_alu instid0(SALU_CYCLE_1)
	s_xor_b32 s2, exec_lo, s3
	s_cbranch_execz .LBB4_14
; %bb.13:
	s_mov_b32 s3, 0x378e98ab
	s_delay_alu instid0(SALU_CYCLE_1) | instskip(NEXT) | instid1(VALU_DEP_1)
	v_fma_f32 v40, |v39|, s3, 0xb9c68948
	v_fma_f32 v40, |v39|, v40, 0x3b7cd369
	s_delay_alu instid0(VALU_DEP_1) | instskip(NEXT) | instid1(VALU_DEP_1)
	v_fma_f32 v40, |v39|, v40, 0xbcc618b2
	v_fma_f32 v40, |v39|, v40, 0x3dda74e4
	s_delay_alu instid0(VALU_DEP_1) | instskip(NEXT) | instid1(VALU_DEP_1)
	;; [unrolled: 3-line block ×3, first 2 shown]
	v_fma_f32 v40, |v39|, v40, |v39|
	v_mul_f32_e32 v41, 0xbfb8aa3b, v40
	v_cmp_nlt_f32_e32 vcc_lo, 0x42ce8ed0, v40
	s_delay_alu instid0(VALU_DEP_2) | instskip(SKIP_1) | instid1(VALU_DEP_1)
	v_fma_f32 v42, 0xbfb8aa3b, v40, -v41
	v_rndne_f32_e32 v43, v41
	v_dual_fmamk_f32 v42, v40, 0xb2a5705f, v42 :: v_dual_sub_f32 v41, v41, v43
	s_delay_alu instid0(VALU_DEP_1) | instskip(SKIP_1) | instid1(VALU_DEP_2)
	v_add_f32_e32 v41, v41, v42
	v_cvt_i32_f32_e32 v42, v43
	v_exp_f32_e32 v41, v41
	s_waitcnt_depctr 0xfff
	v_ldexp_f32 v41, v41, v42
	s_delay_alu instid0(VALU_DEP_1) | instskip(SKIP_1) | instid1(VALU_DEP_2)
	v_cndmask_b32_e32 v41, 0, v41, vcc_lo
	v_cmp_ngt_f32_e32 vcc_lo, 0xc2b17218, v40
	v_cndmask_b32_e32 v40, 0x7f800000, v41, vcc_lo
	s_delay_alu instid0(VALU_DEP_1)
	v_sub_f32_e32 v40, 1.0, v40
.LBB4_14:
	s_and_not1_saveexec_b32 s2, s2
; %bb.15:
	v_mul_f32_e32 v40, v39, v39
	s_mov_b32 s3, 0xba1345e1
	s_delay_alu instid0(VALU_DEP_1) | instid1(SALU_CYCLE_1)
	v_fmaak_f32 v41, s3, v40, 0x3ba10414
	s_delay_alu instid0(VALU_DEP_1) | instskip(NEXT) | instid1(VALU_DEP_1)
	v_fmaak_f32 v41, v40, v41, 0xbcdac9b8
	v_fmaak_f32 v41, v40, v41, 0x3de703be
	s_delay_alu instid0(VALU_DEP_1) | instskip(NEXT) | instid1(VALU_DEP_1)
	v_fmaak_f32 v41, v40, v41, 0xbec09330
	v_fmaak_f32 v40, v40, v41, 0x3e0375d0
	s_delay_alu instid0(VALU_DEP_1)
	v_fma_f32 v40, |v39|, v40, |v39|
; %bb.16:
	s_or_b32 exec_lo, exec_lo, s2
	v_mul_f32_e32 v41, 0x3f3504f3, v17
                                        ; implicit-def: $vgpr42
	s_delay_alu instid0(VALU_DEP_1) | instskip(NEXT) | instid1(VALU_DEP_1)
	v_cmp_nlt_f32_e64 s2, |v41|, 1.0
	s_and_saveexec_b32 s3, s2
	s_delay_alu instid0(SALU_CYCLE_1)
	s_xor_b32 s2, exec_lo, s3
	s_cbranch_execz .LBB4_18
; %bb.17:
	s_mov_b32 s3, 0x378e98ab
	s_delay_alu instid0(SALU_CYCLE_1) | instskip(NEXT) | instid1(VALU_DEP_1)
	v_fma_f32 v42, |v41|, s3, 0xb9c68948
	v_fma_f32 v42, |v41|, v42, 0x3b7cd369
	s_delay_alu instid0(VALU_DEP_1) | instskip(NEXT) | instid1(VALU_DEP_1)
	v_fma_f32 v42, |v41|, v42, 0xbcc618b2
	v_fma_f32 v42, |v41|, v42, 0x3dda74e4
	s_delay_alu instid0(VALU_DEP_1) | instskip(NEXT) | instid1(VALU_DEP_1)
	;; [unrolled: 3-line block ×3, first 2 shown]
	v_fma_f32 v42, |v41|, v42, |v41|
	v_mul_f32_e32 v43, 0xbfb8aa3b, v42
	v_cmp_nlt_f32_e32 vcc_lo, 0x42ce8ed0, v42
	s_delay_alu instid0(VALU_DEP_2) | instskip(SKIP_1) | instid1(VALU_DEP_1)
	v_fma_f32 v44, 0xbfb8aa3b, v42, -v43
	v_rndne_f32_e32 v45, v43
	v_dual_fmamk_f32 v44, v42, 0xb2a5705f, v44 :: v_dual_sub_f32 v43, v43, v45
	s_delay_alu instid0(VALU_DEP_1) | instskip(SKIP_1) | instid1(VALU_DEP_2)
	v_add_f32_e32 v43, v43, v44
	v_cvt_i32_f32_e32 v44, v45
	v_exp_f32_e32 v43, v43
	s_waitcnt_depctr 0xfff
	v_ldexp_f32 v43, v43, v44
	s_delay_alu instid0(VALU_DEP_1) | instskip(SKIP_1) | instid1(VALU_DEP_2)
	v_cndmask_b32_e32 v43, 0, v43, vcc_lo
	v_cmp_ngt_f32_e32 vcc_lo, 0xc2b17218, v42
	v_cndmask_b32_e32 v42, 0x7f800000, v43, vcc_lo
	s_delay_alu instid0(VALU_DEP_1)
	v_sub_f32_e32 v42, 1.0, v42
.LBB4_18:
	s_and_not1_saveexec_b32 s2, s2
; %bb.19:
	v_mul_f32_e32 v42, v41, v41
	s_mov_b32 s3, 0xba1345e1
	s_delay_alu instid0(VALU_DEP_1) | instid1(SALU_CYCLE_1)
	v_fmaak_f32 v43, s3, v42, 0x3ba10414
	s_delay_alu instid0(VALU_DEP_1) | instskip(NEXT) | instid1(VALU_DEP_1)
	v_fmaak_f32 v43, v42, v43, 0xbcdac9b8
	v_fmaak_f32 v43, v42, v43, 0x3de703be
	s_delay_alu instid0(VALU_DEP_1) | instskip(NEXT) | instid1(VALU_DEP_1)
	v_fmaak_f32 v43, v42, v43, 0xbec09330
	v_fmaak_f32 v42, v42, v43, 0x3e0375d0
	s_delay_alu instid0(VALU_DEP_1)
	v_fma_f32 v42, |v41|, v42, |v41|
; %bb.20:
	s_or_b32 exec_lo, exec_lo, s2
	v_mul_f32_e32 v43, 0x3f3504f3, v18
                                        ; implicit-def: $vgpr44
	s_delay_alu instid0(VALU_DEP_1) | instskip(NEXT) | instid1(VALU_DEP_1)
	v_cmp_nlt_f32_e64 s2, |v43|, 1.0
	s_and_saveexec_b32 s3, s2
	s_delay_alu instid0(SALU_CYCLE_1)
	s_xor_b32 s2, exec_lo, s3
	s_cbranch_execz .LBB4_22
; %bb.21:
	s_mov_b32 s3, 0x378e98ab
	s_delay_alu instid0(SALU_CYCLE_1) | instskip(NEXT) | instid1(VALU_DEP_1)
	v_fma_f32 v44, |v43|, s3, 0xb9c68948
	v_fma_f32 v44, |v43|, v44, 0x3b7cd369
	s_delay_alu instid0(VALU_DEP_1) | instskip(NEXT) | instid1(VALU_DEP_1)
	v_fma_f32 v44, |v43|, v44, 0xbcc618b2
	v_fma_f32 v44, |v43|, v44, 0x3dda74e4
	s_delay_alu instid0(VALU_DEP_1) | instskip(NEXT) | instid1(VALU_DEP_1)
	;; [unrolled: 3-line block ×3, first 2 shown]
	v_fma_f32 v44, |v43|, v44, |v43|
	v_mul_f32_e32 v45, 0xbfb8aa3b, v44
	v_cmp_nlt_f32_e32 vcc_lo, 0x42ce8ed0, v44
	s_delay_alu instid0(VALU_DEP_2) | instskip(SKIP_1) | instid1(VALU_DEP_1)
	v_fma_f32 v46, 0xbfb8aa3b, v44, -v45
	v_rndne_f32_e32 v47, v45
	v_dual_fmamk_f32 v46, v44, 0xb2a5705f, v46 :: v_dual_sub_f32 v45, v45, v47
	s_delay_alu instid0(VALU_DEP_1) | instskip(SKIP_1) | instid1(VALU_DEP_2)
	v_add_f32_e32 v45, v45, v46
	v_cvt_i32_f32_e32 v46, v47
	v_exp_f32_e32 v45, v45
	s_waitcnt_depctr 0xfff
	v_ldexp_f32 v45, v45, v46
	s_delay_alu instid0(VALU_DEP_1) | instskip(SKIP_1) | instid1(VALU_DEP_2)
	v_cndmask_b32_e32 v45, 0, v45, vcc_lo
	v_cmp_ngt_f32_e32 vcc_lo, 0xc2b17218, v44
	v_cndmask_b32_e32 v44, 0x7f800000, v45, vcc_lo
	s_delay_alu instid0(VALU_DEP_1)
	v_sub_f32_e32 v44, 1.0, v44
.LBB4_22:
	s_and_not1_saveexec_b32 s2, s2
; %bb.23:
	v_mul_f32_e32 v44, v43, v43
	s_mov_b32 s3, 0xba1345e1
	s_delay_alu instid0(VALU_DEP_1) | instid1(SALU_CYCLE_1)
	v_fmaak_f32 v45, s3, v44, 0x3ba10414
	s_delay_alu instid0(VALU_DEP_1) | instskip(NEXT) | instid1(VALU_DEP_1)
	v_fmaak_f32 v45, v44, v45, 0xbcdac9b8
	v_fmaak_f32 v45, v44, v45, 0x3de703be
	s_delay_alu instid0(VALU_DEP_1) | instskip(NEXT) | instid1(VALU_DEP_1)
	v_fmaak_f32 v45, v44, v45, 0xbec09330
	v_fmaak_f32 v44, v44, v45, 0x3e0375d0
	s_delay_alu instid0(VALU_DEP_1)
	v_fma_f32 v44, |v43|, v44, |v43|
; %bb.24:
	s_or_b32 exec_lo, exec_lo, s2
	v_mul_f32_e32 v45, 0x3f3504f3, v19
                                        ; implicit-def: $vgpr46
	s_delay_alu instid0(VALU_DEP_1) | instskip(NEXT) | instid1(VALU_DEP_1)
	v_cmp_nlt_f32_e64 s2, |v45|, 1.0
	s_and_saveexec_b32 s3, s2
	s_delay_alu instid0(SALU_CYCLE_1)
	s_xor_b32 s2, exec_lo, s3
	s_cbranch_execz .LBB4_26
; %bb.25:
	s_mov_b32 s3, 0x378e98ab
	s_delay_alu instid0(SALU_CYCLE_1) | instskip(NEXT) | instid1(VALU_DEP_1)
	v_fma_f32 v46, |v45|, s3, 0xb9c68948
	v_fma_f32 v46, |v45|, v46, 0x3b7cd369
	s_delay_alu instid0(VALU_DEP_1) | instskip(NEXT) | instid1(VALU_DEP_1)
	v_fma_f32 v46, |v45|, v46, 0xbcc618b2
	v_fma_f32 v46, |v45|, v46, 0x3dda74e4
	s_delay_alu instid0(VALU_DEP_1) | instskip(NEXT) | instid1(VALU_DEP_1)
	;; [unrolled: 3-line block ×3, first 2 shown]
	v_fma_f32 v46, |v45|, v46, |v45|
	v_mul_f32_e32 v47, 0xbfb8aa3b, v46
	v_cmp_nlt_f32_e32 vcc_lo, 0x42ce8ed0, v46
	s_delay_alu instid0(VALU_DEP_2) | instskip(SKIP_1) | instid1(VALU_DEP_1)
	v_fma_f32 v48, 0xbfb8aa3b, v46, -v47
	v_rndne_f32_e32 v49, v47
	v_dual_fmamk_f32 v48, v46, 0xb2a5705f, v48 :: v_dual_sub_f32 v47, v47, v49
	s_delay_alu instid0(VALU_DEP_1) | instskip(SKIP_1) | instid1(VALU_DEP_2)
	v_add_f32_e32 v47, v47, v48
	v_cvt_i32_f32_e32 v48, v49
	v_exp_f32_e32 v47, v47
	s_waitcnt_depctr 0xfff
	v_ldexp_f32 v47, v47, v48
	s_delay_alu instid0(VALU_DEP_1) | instskip(SKIP_1) | instid1(VALU_DEP_2)
	v_cndmask_b32_e32 v47, 0, v47, vcc_lo
	v_cmp_ngt_f32_e32 vcc_lo, 0xc2b17218, v46
	v_cndmask_b32_e32 v46, 0x7f800000, v47, vcc_lo
	s_delay_alu instid0(VALU_DEP_1)
	v_sub_f32_e32 v46, 1.0, v46
.LBB4_26:
	s_and_not1_saveexec_b32 s2, s2
; %bb.27:
	v_mul_f32_e32 v46, v45, v45
	s_mov_b32 s3, 0xba1345e1
	s_delay_alu instid0(VALU_DEP_1) | instid1(SALU_CYCLE_1)
	v_fmaak_f32 v47, s3, v46, 0x3ba10414
	s_delay_alu instid0(VALU_DEP_1) | instskip(NEXT) | instid1(VALU_DEP_1)
	v_fmaak_f32 v47, v46, v47, 0xbcdac9b8
	v_fmaak_f32 v47, v46, v47, 0x3de703be
	s_delay_alu instid0(VALU_DEP_1) | instskip(NEXT) | instid1(VALU_DEP_1)
	v_fmaak_f32 v47, v46, v47, 0xbec09330
	v_fmaak_f32 v46, v46, v47, 0x3e0375d0
	s_delay_alu instid0(VALU_DEP_1)
	v_fma_f32 v46, |v45|, v46, |v45|
; %bb.28:
	s_or_b32 exec_lo, exec_lo, s2
	v_mul_f32_e32 v47, 0x3f3504f3, v20
                                        ; implicit-def: $vgpr48
	s_delay_alu instid0(VALU_DEP_1) | instskip(NEXT) | instid1(VALU_DEP_1)
	v_cmp_nlt_f32_e64 s2, |v47|, 1.0
	s_and_saveexec_b32 s3, s2
	s_delay_alu instid0(SALU_CYCLE_1)
	s_xor_b32 s2, exec_lo, s3
	s_cbranch_execz .LBB4_30
; %bb.29:
	s_mov_b32 s3, 0x378e98ab
	s_delay_alu instid0(SALU_CYCLE_1) | instskip(NEXT) | instid1(VALU_DEP_1)
	v_fma_f32 v48, |v47|, s3, 0xb9c68948
	v_fma_f32 v48, |v47|, v48, 0x3b7cd369
	s_delay_alu instid0(VALU_DEP_1) | instskip(NEXT) | instid1(VALU_DEP_1)
	v_fma_f32 v48, |v47|, v48, 0xbcc618b2
	v_fma_f32 v48, |v47|, v48, 0x3dda74e4
	s_delay_alu instid0(VALU_DEP_1) | instskip(NEXT) | instid1(VALU_DEP_1)
	;; [unrolled: 3-line block ×3, first 2 shown]
	v_fma_f32 v48, |v47|, v48, |v47|
	v_mul_f32_e32 v49, 0xbfb8aa3b, v48
	v_cmp_nlt_f32_e32 vcc_lo, 0x42ce8ed0, v48
	s_delay_alu instid0(VALU_DEP_2) | instskip(SKIP_1) | instid1(VALU_DEP_1)
	v_fma_f32 v50, 0xbfb8aa3b, v48, -v49
	v_rndne_f32_e32 v51, v49
	v_dual_fmamk_f32 v50, v48, 0xb2a5705f, v50 :: v_dual_sub_f32 v49, v49, v51
	s_delay_alu instid0(VALU_DEP_1) | instskip(SKIP_1) | instid1(VALU_DEP_2)
	v_add_f32_e32 v49, v49, v50
	v_cvt_i32_f32_e32 v50, v51
	v_exp_f32_e32 v49, v49
	s_waitcnt_depctr 0xfff
	v_ldexp_f32 v49, v49, v50
	s_delay_alu instid0(VALU_DEP_1) | instskip(SKIP_1) | instid1(VALU_DEP_2)
	v_cndmask_b32_e32 v49, 0, v49, vcc_lo
	v_cmp_ngt_f32_e32 vcc_lo, 0xc2b17218, v48
	v_cndmask_b32_e32 v48, 0x7f800000, v49, vcc_lo
	s_delay_alu instid0(VALU_DEP_1)
	v_sub_f32_e32 v48, 1.0, v48
.LBB4_30:
	s_and_not1_saveexec_b32 s2, s2
; %bb.31:
	v_mul_f32_e32 v48, v47, v47
	s_mov_b32 s3, 0xba1345e1
	s_delay_alu instid0(VALU_DEP_1) | instid1(SALU_CYCLE_1)
	v_fmaak_f32 v49, s3, v48, 0x3ba10414
	s_delay_alu instid0(VALU_DEP_1) | instskip(NEXT) | instid1(VALU_DEP_1)
	v_fmaak_f32 v49, v48, v49, 0xbcdac9b8
	v_fmaak_f32 v49, v48, v49, 0x3de703be
	s_delay_alu instid0(VALU_DEP_1) | instskip(NEXT) | instid1(VALU_DEP_1)
	v_fmaak_f32 v49, v48, v49, 0xbec09330
	v_fmaak_f32 v48, v48, v49, 0x3e0375d0
	s_delay_alu instid0(VALU_DEP_1)
	v_fma_f32 v48, |v47|, v48, |v47|
; %bb.32:
	s_or_b32 exec_lo, exec_lo, s2
	s_waitcnt vmcnt(1)
	v_mul_f32_e32 v49, 0x3f3504f3, v29
                                        ; implicit-def: $vgpr50
	s_delay_alu instid0(VALU_DEP_1) | instskip(NEXT) | instid1(VALU_DEP_1)
	v_cmp_nlt_f32_e64 s2, |v49|, 1.0
	s_and_saveexec_b32 s3, s2
	s_delay_alu instid0(SALU_CYCLE_1)
	s_xor_b32 s2, exec_lo, s3
	s_cbranch_execz .LBB4_34
; %bb.33:
	s_mov_b32 s3, 0x378e98ab
	s_delay_alu instid0(SALU_CYCLE_1) | instskip(NEXT) | instid1(VALU_DEP_1)
	v_fma_f32 v50, |v49|, s3, 0xb9c68948
	v_fma_f32 v50, |v49|, v50, 0x3b7cd369
	s_delay_alu instid0(VALU_DEP_1) | instskip(NEXT) | instid1(VALU_DEP_1)
	v_fma_f32 v50, |v49|, v50, 0xbcc618b2
	v_fma_f32 v50, |v49|, v50, 0x3dda74e4
	s_delay_alu instid0(VALU_DEP_1) | instskip(NEXT) | instid1(VALU_DEP_1)
	;; [unrolled: 3-line block ×3, first 2 shown]
	v_fma_f32 v50, |v49|, v50, |v49|
	v_mul_f32_e32 v51, 0xbfb8aa3b, v50
	v_cmp_nlt_f32_e32 vcc_lo, 0x42ce8ed0, v50
	s_delay_alu instid0(VALU_DEP_2) | instskip(SKIP_1) | instid1(VALU_DEP_1)
	v_fma_f32 v52, 0xbfb8aa3b, v50, -v51
	v_rndne_f32_e32 v53, v51
	v_dual_fmamk_f32 v52, v50, 0xb2a5705f, v52 :: v_dual_sub_f32 v51, v51, v53
	s_delay_alu instid0(VALU_DEP_1) | instskip(SKIP_1) | instid1(VALU_DEP_2)
	v_add_f32_e32 v51, v51, v52
	v_cvt_i32_f32_e32 v52, v53
	v_exp_f32_e32 v51, v51
	s_waitcnt_depctr 0xfff
	v_ldexp_f32 v51, v51, v52
	s_delay_alu instid0(VALU_DEP_1) | instskip(SKIP_1) | instid1(VALU_DEP_2)
	v_cndmask_b32_e32 v51, 0, v51, vcc_lo
	v_cmp_ngt_f32_e32 vcc_lo, 0xc2b17218, v50
	v_cndmask_b32_e32 v50, 0x7f800000, v51, vcc_lo
	s_delay_alu instid0(VALU_DEP_1)
	v_sub_f32_e32 v50, 1.0, v50
.LBB4_34:
	s_and_not1_saveexec_b32 s2, s2
; %bb.35:
	v_mul_f32_e32 v50, v49, v49
	s_mov_b32 s3, 0xba1345e1
	s_delay_alu instid0(VALU_DEP_1) | instid1(SALU_CYCLE_1)
	v_fmaak_f32 v51, s3, v50, 0x3ba10414
	s_delay_alu instid0(VALU_DEP_1) | instskip(NEXT) | instid1(VALU_DEP_1)
	v_fmaak_f32 v51, v50, v51, 0xbcdac9b8
	v_fmaak_f32 v51, v50, v51, 0x3de703be
	s_delay_alu instid0(VALU_DEP_1) | instskip(NEXT) | instid1(VALU_DEP_1)
	v_fmaak_f32 v51, v50, v51, 0xbec09330
	v_fmaak_f32 v50, v50, v51, 0x3e0375d0
	s_delay_alu instid0(VALU_DEP_1)
	v_fma_f32 v50, |v49|, v50, |v49|
; %bb.36:
	s_or_b32 exec_lo, exec_lo, s2
	v_mul_f32_e32 v51, 0x3f3504f3, v30
                                        ; implicit-def: $vgpr52
	s_delay_alu instid0(VALU_DEP_1) | instskip(NEXT) | instid1(VALU_DEP_1)
	v_cmp_nlt_f32_e64 s2, |v51|, 1.0
	s_and_saveexec_b32 s3, s2
	s_delay_alu instid0(SALU_CYCLE_1)
	s_xor_b32 s2, exec_lo, s3
	s_cbranch_execz .LBB4_38
; %bb.37:
	s_mov_b32 s3, 0x378e98ab
	s_delay_alu instid0(SALU_CYCLE_1) | instskip(NEXT) | instid1(VALU_DEP_1)
	v_fma_f32 v52, |v51|, s3, 0xb9c68948
	v_fma_f32 v52, |v51|, v52, 0x3b7cd369
	s_delay_alu instid0(VALU_DEP_1) | instskip(NEXT) | instid1(VALU_DEP_1)
	v_fma_f32 v52, |v51|, v52, 0xbcc618b2
	v_fma_f32 v52, |v51|, v52, 0x3dda74e4
	s_delay_alu instid0(VALU_DEP_1) | instskip(NEXT) | instid1(VALU_DEP_1)
	;; [unrolled: 3-line block ×3, first 2 shown]
	v_fma_f32 v52, |v51|, v52, |v51|
	v_mul_f32_e32 v53, 0xbfb8aa3b, v52
	v_cmp_nlt_f32_e32 vcc_lo, 0x42ce8ed0, v52
	s_delay_alu instid0(VALU_DEP_2) | instskip(SKIP_1) | instid1(VALU_DEP_1)
	v_fma_f32 v54, 0xbfb8aa3b, v52, -v53
	v_rndne_f32_e32 v55, v53
	v_dual_fmamk_f32 v54, v52, 0xb2a5705f, v54 :: v_dual_sub_f32 v53, v53, v55
	s_delay_alu instid0(VALU_DEP_1) | instskip(SKIP_1) | instid1(VALU_DEP_2)
	v_add_f32_e32 v53, v53, v54
	v_cvt_i32_f32_e32 v54, v55
	v_exp_f32_e32 v53, v53
	s_waitcnt_depctr 0xfff
	v_ldexp_f32 v53, v53, v54
	s_delay_alu instid0(VALU_DEP_1) | instskip(SKIP_1) | instid1(VALU_DEP_2)
	v_cndmask_b32_e32 v53, 0, v53, vcc_lo
	v_cmp_ngt_f32_e32 vcc_lo, 0xc2b17218, v52
	v_cndmask_b32_e32 v52, 0x7f800000, v53, vcc_lo
	s_delay_alu instid0(VALU_DEP_1)
	v_sub_f32_e32 v52, 1.0, v52
.LBB4_38:
	s_and_not1_saveexec_b32 s2, s2
; %bb.39:
	v_mul_f32_e32 v52, v51, v51
	s_mov_b32 s3, 0xba1345e1
	s_delay_alu instid0(VALU_DEP_1) | instid1(SALU_CYCLE_1)
	v_fmaak_f32 v53, s3, v52, 0x3ba10414
	s_delay_alu instid0(VALU_DEP_1) | instskip(NEXT) | instid1(VALU_DEP_1)
	v_fmaak_f32 v53, v52, v53, 0xbcdac9b8
	v_fmaak_f32 v53, v52, v53, 0x3de703be
	s_delay_alu instid0(VALU_DEP_1) | instskip(NEXT) | instid1(VALU_DEP_1)
	v_fmaak_f32 v53, v52, v53, 0xbec09330
	v_fmaak_f32 v52, v52, v53, 0x3e0375d0
	s_delay_alu instid0(VALU_DEP_1)
	v_fma_f32 v52, |v51|, v52, |v51|
; %bb.40:
	s_or_b32 exec_lo, exec_lo, s2
	v_mul_f32_e32 v53, 0x3f3504f3, v31
                                        ; implicit-def: $vgpr54
	s_delay_alu instid0(VALU_DEP_1) | instskip(NEXT) | instid1(VALU_DEP_1)
	v_cmp_nlt_f32_e64 s2, |v53|, 1.0
	s_and_saveexec_b32 s3, s2
	s_delay_alu instid0(SALU_CYCLE_1)
	s_xor_b32 s2, exec_lo, s3
	s_cbranch_execz .LBB4_42
; %bb.41:
	s_mov_b32 s3, 0x378e98ab
	s_delay_alu instid0(SALU_CYCLE_1) | instskip(NEXT) | instid1(VALU_DEP_1)
	v_fma_f32 v54, |v53|, s3, 0xb9c68948
	v_fma_f32 v54, |v53|, v54, 0x3b7cd369
	s_delay_alu instid0(VALU_DEP_1) | instskip(NEXT) | instid1(VALU_DEP_1)
	v_fma_f32 v54, |v53|, v54, 0xbcc618b2
	v_fma_f32 v54, |v53|, v54, 0x3dda74e4
	s_delay_alu instid0(VALU_DEP_1) | instskip(NEXT) | instid1(VALU_DEP_1)
	;; [unrolled: 3-line block ×3, first 2 shown]
	v_fma_f32 v54, |v53|, v54, |v53|
	v_mul_f32_e32 v55, 0xbfb8aa3b, v54
	v_cmp_nlt_f32_e32 vcc_lo, 0x42ce8ed0, v54
	s_delay_alu instid0(VALU_DEP_2) | instskip(SKIP_1) | instid1(VALU_DEP_1)
	v_fma_f32 v56, 0xbfb8aa3b, v54, -v55
	v_rndne_f32_e32 v57, v55
	v_dual_fmamk_f32 v56, v54, 0xb2a5705f, v56 :: v_dual_sub_f32 v55, v55, v57
	s_delay_alu instid0(VALU_DEP_1) | instskip(SKIP_1) | instid1(VALU_DEP_2)
	v_add_f32_e32 v55, v55, v56
	v_cvt_i32_f32_e32 v56, v57
	v_exp_f32_e32 v55, v55
	s_waitcnt_depctr 0xfff
	v_ldexp_f32 v55, v55, v56
	s_delay_alu instid0(VALU_DEP_1) | instskip(SKIP_1) | instid1(VALU_DEP_2)
	v_cndmask_b32_e32 v55, 0, v55, vcc_lo
	v_cmp_ngt_f32_e32 vcc_lo, 0xc2b17218, v54
	v_cndmask_b32_e32 v54, 0x7f800000, v55, vcc_lo
	s_delay_alu instid0(VALU_DEP_1)
	v_sub_f32_e32 v54, 1.0, v54
.LBB4_42:
	s_and_not1_saveexec_b32 s2, s2
; %bb.43:
	v_mul_f32_e32 v54, v53, v53
	s_mov_b32 s3, 0xba1345e1
	s_delay_alu instid0(VALU_DEP_1) | instid1(SALU_CYCLE_1)
	v_fmaak_f32 v55, s3, v54, 0x3ba10414
	s_delay_alu instid0(VALU_DEP_1) | instskip(NEXT) | instid1(VALU_DEP_1)
	v_fmaak_f32 v55, v54, v55, 0xbcdac9b8
	v_fmaak_f32 v55, v54, v55, 0x3de703be
	s_delay_alu instid0(VALU_DEP_1) | instskip(NEXT) | instid1(VALU_DEP_1)
	v_fmaak_f32 v55, v54, v55, 0xbec09330
	v_fmaak_f32 v54, v54, v55, 0x3e0375d0
	s_delay_alu instid0(VALU_DEP_1)
	v_fma_f32 v54, |v53|, v54, |v53|
; %bb.44:
	s_or_b32 exec_lo, exec_lo, s2
	v_mul_f32_e32 v55, 0x3f3504f3, v32
                                        ; implicit-def: $vgpr56
	s_delay_alu instid0(VALU_DEP_1) | instskip(NEXT) | instid1(VALU_DEP_1)
	v_cmp_nlt_f32_e64 s2, |v55|, 1.0
	s_and_saveexec_b32 s3, s2
	s_delay_alu instid0(SALU_CYCLE_1)
	s_xor_b32 s2, exec_lo, s3
	s_cbranch_execz .LBB4_46
; %bb.45:
	s_mov_b32 s3, 0x378e98ab
	s_delay_alu instid0(SALU_CYCLE_1) | instskip(NEXT) | instid1(VALU_DEP_1)
	v_fma_f32 v56, |v55|, s3, 0xb9c68948
	v_fma_f32 v56, |v55|, v56, 0x3b7cd369
	s_delay_alu instid0(VALU_DEP_1) | instskip(NEXT) | instid1(VALU_DEP_1)
	v_fma_f32 v56, |v55|, v56, 0xbcc618b2
	v_fma_f32 v56, |v55|, v56, 0x3dda74e4
	s_delay_alu instid0(VALU_DEP_1) | instskip(NEXT) | instid1(VALU_DEP_1)
	;; [unrolled: 3-line block ×3, first 2 shown]
	v_fma_f32 v56, |v55|, v56, |v55|
	v_mul_f32_e32 v57, 0xbfb8aa3b, v56
	v_cmp_nlt_f32_e32 vcc_lo, 0x42ce8ed0, v56
	s_delay_alu instid0(VALU_DEP_2) | instskip(SKIP_1) | instid1(VALU_DEP_1)
	v_fma_f32 v58, 0xbfb8aa3b, v56, -v57
	v_rndne_f32_e32 v59, v57
	v_dual_fmamk_f32 v58, v56, 0xb2a5705f, v58 :: v_dual_sub_f32 v57, v57, v59
	s_delay_alu instid0(VALU_DEP_1) | instskip(SKIP_1) | instid1(VALU_DEP_2)
	v_add_f32_e32 v57, v57, v58
	v_cvt_i32_f32_e32 v58, v59
	v_exp_f32_e32 v57, v57
	s_waitcnt_depctr 0xfff
	v_ldexp_f32 v57, v57, v58
	s_delay_alu instid0(VALU_DEP_1) | instskip(SKIP_1) | instid1(VALU_DEP_2)
	v_cndmask_b32_e32 v57, 0, v57, vcc_lo
	v_cmp_ngt_f32_e32 vcc_lo, 0xc2b17218, v56
	v_cndmask_b32_e32 v56, 0x7f800000, v57, vcc_lo
	s_delay_alu instid0(VALU_DEP_1)
	v_sub_f32_e32 v56, 1.0, v56
.LBB4_46:
	s_and_not1_saveexec_b32 s2, s2
; %bb.47:
	v_mul_f32_e32 v56, v55, v55
	s_mov_b32 s3, 0xba1345e1
	s_delay_alu instid0(VALU_DEP_1) | instid1(SALU_CYCLE_1)
	v_fmaak_f32 v57, s3, v56, 0x3ba10414
	s_delay_alu instid0(VALU_DEP_1) | instskip(NEXT) | instid1(VALU_DEP_1)
	v_fmaak_f32 v57, v56, v57, 0xbcdac9b8
	v_fmaak_f32 v57, v56, v57, 0x3de703be
	s_delay_alu instid0(VALU_DEP_1) | instskip(NEXT) | instid1(VALU_DEP_1)
	v_fmaak_f32 v57, v56, v57, 0xbec09330
	v_fmaak_f32 v56, v56, v57, 0x3e0375d0
	s_delay_alu instid0(VALU_DEP_1)
	v_fma_f32 v56, |v55|, v56, |v55|
; %bb.48:
	s_or_b32 exec_lo, exec_lo, s2
	s_waitcnt vmcnt(0)
	v_mul_f32_e32 v57, 0x3f3504f3, v13
                                        ; implicit-def: $vgpr58
	s_delay_alu instid0(VALU_DEP_1) | instskip(NEXT) | instid1(VALU_DEP_1)
	v_cmp_nlt_f32_e64 s2, |v57|, 1.0
	s_and_saveexec_b32 s3, s2
	s_delay_alu instid0(SALU_CYCLE_1)
	s_xor_b32 s2, exec_lo, s3
	s_cbranch_execz .LBB4_50
; %bb.49:
	s_mov_b32 s3, 0x378e98ab
	s_delay_alu instid0(SALU_CYCLE_1) | instskip(NEXT) | instid1(VALU_DEP_1)
	v_fma_f32 v58, |v57|, s3, 0xb9c68948
	v_fma_f32 v58, |v57|, v58, 0x3b7cd369
	s_delay_alu instid0(VALU_DEP_1) | instskip(NEXT) | instid1(VALU_DEP_1)
	v_fma_f32 v58, |v57|, v58, 0xbcc618b2
	v_fma_f32 v58, |v57|, v58, 0x3dda74e4
	s_delay_alu instid0(VALU_DEP_1) | instskip(NEXT) | instid1(VALU_DEP_1)
	;; [unrolled: 3-line block ×3, first 2 shown]
	v_fma_f32 v58, |v57|, v58, |v57|
	v_mul_f32_e32 v59, 0xbfb8aa3b, v58
	v_cmp_nlt_f32_e32 vcc_lo, 0x42ce8ed0, v58
	s_delay_alu instid0(VALU_DEP_2) | instskip(SKIP_1) | instid1(VALU_DEP_1)
	v_fma_f32 v60, 0xbfb8aa3b, v58, -v59
	v_rndne_f32_e32 v61, v59
	v_dual_fmamk_f32 v60, v58, 0xb2a5705f, v60 :: v_dual_sub_f32 v59, v59, v61
	s_delay_alu instid0(VALU_DEP_1) | instskip(SKIP_1) | instid1(VALU_DEP_2)
	v_add_f32_e32 v59, v59, v60
	v_cvt_i32_f32_e32 v60, v61
	v_exp_f32_e32 v59, v59
	s_waitcnt_depctr 0xfff
	v_ldexp_f32 v59, v59, v60
	s_delay_alu instid0(VALU_DEP_1) | instskip(SKIP_1) | instid1(VALU_DEP_2)
	v_cndmask_b32_e32 v59, 0, v59, vcc_lo
	v_cmp_ngt_f32_e32 vcc_lo, 0xc2b17218, v58
	v_cndmask_b32_e32 v58, 0x7f800000, v59, vcc_lo
	s_delay_alu instid0(VALU_DEP_1)
	v_sub_f32_e32 v58, 1.0, v58
.LBB4_50:
	s_and_not1_saveexec_b32 s2, s2
; %bb.51:
	v_mul_f32_e32 v58, v57, v57
	s_mov_b32 s3, 0xba1345e1
	s_delay_alu instid0(VALU_DEP_1) | instid1(SALU_CYCLE_1)
	v_fmaak_f32 v59, s3, v58, 0x3ba10414
	s_delay_alu instid0(VALU_DEP_1) | instskip(NEXT) | instid1(VALU_DEP_1)
	v_fmaak_f32 v59, v58, v59, 0xbcdac9b8
	v_fmaak_f32 v59, v58, v59, 0x3de703be
	s_delay_alu instid0(VALU_DEP_1) | instskip(NEXT) | instid1(VALU_DEP_1)
	v_fmaak_f32 v59, v58, v59, 0xbec09330
	v_fmaak_f32 v58, v58, v59, 0x3e0375d0
	s_delay_alu instid0(VALU_DEP_1)
	v_fma_f32 v58, |v57|, v58, |v57|
; %bb.52:
	s_or_b32 exec_lo, exec_lo, s2
	v_mul_f32_e32 v60, 0x3f3504f3, v14
                                        ; implicit-def: $vgpr62
	s_delay_alu instid0(VALU_DEP_1) | instskip(NEXT) | instid1(VALU_DEP_1)
	v_cmp_nlt_f32_e64 s2, |v60|, 1.0
	s_and_saveexec_b32 s3, s2
	s_delay_alu instid0(SALU_CYCLE_1)
	s_xor_b32 s2, exec_lo, s3
	s_cbranch_execz .LBB4_54
; %bb.53:
	s_mov_b32 s3, 0x378e98ab
	s_delay_alu instid0(SALU_CYCLE_1) | instskip(NEXT) | instid1(VALU_DEP_1)
	v_fma_f32 v59, |v60|, s3, 0xb9c68948
	v_fma_f32 v59, |v60|, v59, 0x3b7cd369
	s_delay_alu instid0(VALU_DEP_1) | instskip(NEXT) | instid1(VALU_DEP_1)
	v_fma_f32 v59, |v60|, v59, 0xbcc618b2
	v_fma_f32 v59, |v60|, v59, 0x3dda74e4
	s_delay_alu instid0(VALU_DEP_1) | instskip(NEXT) | instid1(VALU_DEP_1)
	;; [unrolled: 3-line block ×3, first 2 shown]
	v_fma_f32 v59, |v60|, v59, |v60|
	v_mul_f32_e32 v61, 0xbfb8aa3b, v59
	v_cmp_nlt_f32_e32 vcc_lo, 0x42ce8ed0, v59
	s_delay_alu instid0(VALU_DEP_2) | instskip(SKIP_1) | instid1(VALU_DEP_1)
	v_fma_f32 v62, 0xbfb8aa3b, v59, -v61
	v_rndne_f32_e32 v63, v61
	v_dual_fmamk_f32 v62, v59, 0xb2a5705f, v62 :: v_dual_sub_f32 v61, v61, v63
	s_delay_alu instid0(VALU_DEP_1) | instskip(SKIP_1) | instid1(VALU_DEP_2)
	v_add_f32_e32 v61, v61, v62
	v_cvt_i32_f32_e32 v62, v63
	v_exp_f32_e32 v61, v61
	s_waitcnt_depctr 0xfff
	v_ldexp_f32 v61, v61, v62
	s_delay_alu instid0(VALU_DEP_1) | instskip(SKIP_1) | instid1(VALU_DEP_2)
	v_cndmask_b32_e32 v61, 0, v61, vcc_lo
	v_cmp_ngt_f32_e32 vcc_lo, 0xc2b17218, v59
	v_cndmask_b32_e32 v59, 0x7f800000, v61, vcc_lo
	s_delay_alu instid0(VALU_DEP_1)
	v_sub_f32_e32 v62, 1.0, v59
.LBB4_54:
	s_and_not1_saveexec_b32 s2, s2
; %bb.55:
	v_mul_f32_e32 v59, v60, v60
	s_mov_b32 s3, 0xba1345e1
	s_delay_alu instid0(VALU_DEP_1) | instid1(SALU_CYCLE_1)
	v_fmaak_f32 v61, s3, v59, 0x3ba10414
	s_delay_alu instid0(VALU_DEP_1) | instskip(NEXT) | instid1(VALU_DEP_1)
	v_fmaak_f32 v61, v59, v61, 0xbcdac9b8
	v_fmaak_f32 v61, v59, v61, 0x3de703be
	s_delay_alu instid0(VALU_DEP_1) | instskip(NEXT) | instid1(VALU_DEP_1)
	v_fmaak_f32 v61, v59, v61, 0xbec09330
	v_fmaak_f32 v59, v59, v61, 0x3e0375d0
	s_delay_alu instid0(VALU_DEP_1)
	v_fma_f32 v62, |v60|, v59, |v60|
; %bb.56:
	s_or_b32 exec_lo, exec_lo, s2
	v_mul_f32_e32 v63, 0x3f3504f3, v15
                                        ; implicit-def: $vgpr64
	s_delay_alu instid0(VALU_DEP_1) | instskip(NEXT) | instid1(VALU_DEP_1)
	v_cmp_nlt_f32_e64 s2, |v63|, 1.0
	s_and_saveexec_b32 s3, s2
	s_delay_alu instid0(SALU_CYCLE_1)
	s_xor_b32 s2, exec_lo, s3
	s_cbranch_execz .LBB4_58
; %bb.57:
	s_mov_b32 s3, 0x378e98ab
	s_delay_alu instid0(SALU_CYCLE_1) | instskip(NEXT) | instid1(VALU_DEP_1)
	v_fma_f32 v59, |v63|, s3, 0xb9c68948
	v_fma_f32 v59, |v63|, v59, 0x3b7cd369
	s_delay_alu instid0(VALU_DEP_1) | instskip(NEXT) | instid1(VALU_DEP_1)
	v_fma_f32 v59, |v63|, v59, 0xbcc618b2
	v_fma_f32 v59, |v63|, v59, 0x3dda74e4
	s_delay_alu instid0(VALU_DEP_1) | instskip(NEXT) | instid1(VALU_DEP_1)
	;; [unrolled: 3-line block ×3, first 2 shown]
	v_fma_f32 v59, |v63|, v59, |v63|
	v_mul_f32_e32 v61, 0xbfb8aa3b, v59
	v_cmp_nlt_f32_e32 vcc_lo, 0x42ce8ed0, v59
	s_delay_alu instid0(VALU_DEP_2) | instskip(SKIP_1) | instid1(VALU_DEP_1)
	v_fma_f32 v64, 0xbfb8aa3b, v59, -v61
	v_rndne_f32_e32 v65, v61
	v_dual_fmamk_f32 v64, v59, 0xb2a5705f, v64 :: v_dual_sub_f32 v61, v61, v65
	s_delay_alu instid0(VALU_DEP_1) | instskip(SKIP_1) | instid1(VALU_DEP_2)
	v_add_f32_e32 v61, v61, v64
	v_cvt_i32_f32_e32 v64, v65
	v_exp_f32_e32 v61, v61
	s_waitcnt_depctr 0xfff
	v_ldexp_f32 v61, v61, v64
	s_delay_alu instid0(VALU_DEP_1) | instskip(SKIP_1) | instid1(VALU_DEP_2)
	v_cndmask_b32_e32 v61, 0, v61, vcc_lo
	v_cmp_ngt_f32_e32 vcc_lo, 0xc2b17218, v59
	v_cndmask_b32_e32 v59, 0x7f800000, v61, vcc_lo
	s_delay_alu instid0(VALU_DEP_1)
	v_sub_f32_e32 v64, 1.0, v59
.LBB4_58:
	s_and_not1_saveexec_b32 s2, s2
; %bb.59:
	v_mul_f32_e32 v59, v63, v63
	s_mov_b32 s3, 0xba1345e1
	s_delay_alu instid0(VALU_DEP_1) | instid1(SALU_CYCLE_1)
	v_fmaak_f32 v61, s3, v59, 0x3ba10414
	s_delay_alu instid0(VALU_DEP_1) | instskip(NEXT) | instid1(VALU_DEP_1)
	v_fmaak_f32 v61, v59, v61, 0xbcdac9b8
	v_fmaak_f32 v61, v59, v61, 0x3de703be
	s_delay_alu instid0(VALU_DEP_1) | instskip(NEXT) | instid1(VALU_DEP_1)
	v_fmaak_f32 v61, v59, v61, 0xbec09330
	v_fmaak_f32 v59, v59, v61, 0x3e0375d0
	s_delay_alu instid0(VALU_DEP_1)
	v_fma_f32 v64, |v63|, v59, |v63|
; %bb.60:
	s_or_b32 exec_lo, exec_lo, s2
	v_mul_f32_e32 v59, 0x3f3504f3, v16
	v_lshlrev_b32_e32 v0, 3, v0
                                        ; implicit-def: $vgpr61
	s_delay_alu instid0(VALU_DEP_2) | instskip(NEXT) | instid1(VALU_DEP_1)
	v_cmp_nlt_f32_e64 s2, |v59|, 1.0
	s_and_saveexec_b32 s3, s2
	s_delay_alu instid0(SALU_CYCLE_1)
	s_xor_b32 s2, exec_lo, s3
	s_cbranch_execz .LBB4_62
; %bb.61:
	s_mov_b32 s3, 0x378e98ab
	s_delay_alu instid0(SALU_CYCLE_1) | instskip(NEXT) | instid1(VALU_DEP_1)
	v_fma_f32 v61, |v59|, s3, 0xb9c68948
	v_fma_f32 v61, |v59|, v61, 0x3b7cd369
	s_delay_alu instid0(VALU_DEP_1) | instskip(NEXT) | instid1(VALU_DEP_1)
	v_fma_f32 v61, |v59|, v61, 0xbcc618b2
	v_fma_f32 v61, |v59|, v61, 0x3dda74e4
	s_delay_alu instid0(VALU_DEP_1) | instskip(NEXT) | instid1(VALU_DEP_1)
	;; [unrolled: 3-line block ×3, first 2 shown]
	v_fma_f32 v61, |v59|, v61, |v59|
	v_mul_f32_e32 v65, 0xbfb8aa3b, v61
	v_cmp_nlt_f32_e32 vcc_lo, 0x42ce8ed0, v61
	s_delay_alu instid0(VALU_DEP_2) | instskip(SKIP_1) | instid1(VALU_DEP_2)
	v_fma_f32 v66, 0xbfb8aa3b, v61, -v65
	v_rndne_f32_e32 v67, v65
	v_fmamk_f32 v66, v61, 0xb2a5705f, v66
	s_delay_alu instid0(VALU_DEP_2) | instskip(NEXT) | instid1(VALU_DEP_1)
	v_sub_f32_e32 v65, v65, v67
	v_add_f32_e32 v65, v65, v66
	v_cvt_i32_f32_e32 v66, v67
	s_delay_alu instid0(VALU_DEP_2) | instskip(SKIP_2) | instid1(VALU_DEP_1)
	v_exp_f32_e32 v65, v65
	s_waitcnt_depctr 0xfff
	v_ldexp_f32 v65, v65, v66
	v_cndmask_b32_e32 v65, 0, v65, vcc_lo
	v_cmp_ngt_f32_e32 vcc_lo, 0xc2b17218, v61
	s_delay_alu instid0(VALU_DEP_2) | instskip(NEXT) | instid1(VALU_DEP_1)
	v_cndmask_b32_e32 v61, 0x7f800000, v65, vcc_lo
	v_sub_f32_e32 v61, 1.0, v61
.LBB4_62:
	s_and_not1_saveexec_b32 s2, s2
; %bb.63:
	v_mul_f32_e32 v61, v59, v59
	s_mov_b32 s3, 0xba1345e1
	s_delay_alu instid0(VALU_DEP_1) | instid1(SALU_CYCLE_1)
	v_fmaak_f32 v65, s3, v61, 0x3ba10414
	s_delay_alu instid0(VALU_DEP_1) | instskip(NEXT) | instid1(VALU_DEP_1)
	v_fmaak_f32 v65, v61, v65, 0xbcdac9b8
	v_fmaak_f32 v65, v61, v65, 0x3de703be
	s_delay_alu instid0(VALU_DEP_1) | instskip(NEXT) | instid1(VALU_DEP_1)
	v_fmaak_f32 v65, v61, v65, 0xbec09330
	v_fmaak_f32 v61, v61, v65, 0x3e0375d0
	s_delay_alu instid0(VALU_DEP_1)
	v_fma_f32 v61, |v59|, v61, |v59|
; %bb.64:
	s_or_b32 exec_lo, exec_lo, s2
	v_bfi_b32 v63, 0x7fffffff, v64, v63
	v_bfi_b32 v60, 0x7fffffff, v62, v60
	;; [unrolled: 1-line block ×3, first 2 shown]
	v_dual_mul_f32 v15, 0.5, v15 :: v_dual_mul_f32 v14, 0.5, v14
	s_delay_alu instid0(VALU_DEP_4) | instskip(NEXT) | instid1(VALU_DEP_3)
	v_dual_add_f32 v58, 1.0, v63 :: v_dual_mul_f32 v13, 0.5, v13
	v_dual_add_f32 v60, 1.0, v60 :: v_dual_add_f32 v57, 1.0, v57
	v_bfi_b32 v55, 0x7fffffff, v56, v55
	s_delay_alu instid0(VALU_DEP_3) | instskip(NEXT) | instid1(VALU_DEP_3)
	v_dual_mul_f32 v15, v15, v58 :: v_dual_mul_f32 v32, 0.5, v32
	v_dual_mul_f32 v14, v14, v60 :: v_dual_mul_f32 v13, v13, v57
	s_delay_alu instid0(VALU_DEP_3) | instskip(NEXT) | instid1(VALU_DEP_3)
	v_add_f32_e32 v55, 1.0, v55
	v_dual_mul_f32 v3, v3, v15 :: v_dual_mul_f32 v30, 0.5, v30
	s_delay_alu instid0(VALU_DEP_3) | instskip(NEXT) | instid1(VALU_DEP_3)
	v_dual_mul_f32 v2, v2, v14 :: v_dual_mul_f32 v1, v1, v13
	v_mul_f32_e32 v14, v32, v55
	v_bfi_b32 v13, 0x7fffffff, v54, v53
	v_bfi_b32 v15, 0x7fffffff, v52, v51
	;; [unrolled: 1-line block ×3, first 2 shown]
	s_delay_alu instid0(VALU_DEP_4) | instskip(NEXT) | instid1(VALU_DEP_4)
	v_dual_mul_f32 v31, 0.5, v31 :: v_dual_mul_f32 v28, v28, v14
	v_add_f32_e32 v13, 1.0, v13
	v_bfi_b32 v14, 0x7fffffff, v48, v47
	v_dual_add_f32 v15, 1.0, v15 :: v_dual_mul_f32 v20, 0.5, v20
	v_dual_mul_f32 v29, 0.5, v29 :: v_dual_add_f32 v32, 1.0, v32
	s_delay_alu instid0(VALU_DEP_2) | instskip(SKIP_2) | instid1(VALU_DEP_3)
	v_dual_add_f32 v14, 1.0, v14 :: v_dual_mul_f32 v15, v30, v15
	v_mul_f32_e32 v18, 0.5, v18
	v_mul_f32_e32 v8, 0.5, v8
	v_dual_mul_f32 v29, v29, v32 :: v_dual_mul_f32 v14, v20, v14
	s_delay_alu instid0(VALU_DEP_4) | instskip(SKIP_1) | instid1(VALU_DEP_3)
	v_dual_mul_f32 v13, v31, v13 :: v_dual_mul_f32 v26, v26, v15
	v_bfi_b32 v20, 0x7fffffff, v42, v41
	v_mul_f32_e32 v25, v25, v29
	v_bfi_b32 v15, 0x7fffffff, v44, v43
	s_delay_alu instid0(VALU_DEP_4)
	v_mul_f32_e32 v27, v27, v13
	v_bfi_b32 v13, 0x7fffffff, v46, v45
	v_dual_add_f32 v29, 1.0, v20 :: v_dual_mul_f32 v20, v24, v14
	v_bfi_b32 v14, 0x7fffffff, v40, v39
	v_mul_f32_e32 v19, 0.5, v19
	v_dual_mul_f32 v17, 0.5, v17 :: v_dual_mul_f32 v6, 0.5, v6
	s_delay_alu instid0(VALU_DEP_3) | instskip(SKIP_4) | instid1(VALU_DEP_3)
	v_dual_mul_f32 v7, 0.5, v7 :: v_dual_add_f32 v14, 1.0, v14
	v_add_f32_e32 v15, 1.0, v15
	v_mul_f32_e32 v5, 0.5, v5
	s_and_b32 s2, s15, 0x7fffffff
	v_lshlrev_b32_e32 v0, 2, v0
	v_dual_mul_f32 v8, v8, v14 :: v_dual_mul_f32 v15, v18, v15
	v_add_f32_e32 v13, 1.0, v13
	v_bfi_b32 v14, 0x7fffffff, v36, v35
	s_mul_i32 s3, s2, 0x2800
	s_delay_alu instid0(VALU_DEP_3) | instskip(NEXT) | instid1(VALU_DEP_3)
	v_mul_f32_e32 v8, v12, v8
	v_dual_mul_f32 v18, v22, v15 :: v_dual_mul_f32 v13, v19, v13
	s_delay_alu instid0(VALU_DEP_3) | instskip(SKIP_3) | instid1(VALU_DEP_3)
	v_dual_add_f32 v14, 1.0, v14 :: v_dual_mul_f32 v17, v17, v29
	v_bfi_b32 v15, 0x7fffffff, v34, v33
	v_bfi_b32 v12, 0x7fffffff, v61, v59
	s_mul_hi_u32 s2, s2, 0x2800
	v_dual_mul_f32 v6, v6, v14 :: v_dual_mul_f32 v19, v23, v13
	v_bfi_b32 v13, 0x7fffffff, v38, v37
	v_add_f32_e32 v15, 1.0, v15
	v_dual_mul_f32 v17, v21, v17 :: v_dual_add_f32 v12, 1.0, v12
	s_add_u32 s0, s0, s3
	s_delay_alu instid0(VALU_DEP_3) | instskip(NEXT) | instid1(VALU_DEP_3)
	v_add_f32_e32 v13, 1.0, v13
	v_mul_f32_e32 v5, v5, v15
	s_addc_u32 s1, s1, s2
	s_delay_alu instid0(VALU_DEP_2) | instskip(SKIP_1) | instid1(VALU_DEP_3)
	v_dual_mul_f32 v6, v10, v6 :: v_dual_mul_f32 v7, v7, v13
	v_mul_f32_e32 v13, 0.5, v16
	v_mul_f32_e32 v5, v9, v5
	s_delay_alu instid0(VALU_DEP_3) | instskip(NEXT) | instid1(VALU_DEP_3)
	v_mul_f32_e32 v7, v11, v7
	v_mul_f32_e32 v9, v13, v12
	v_add_co_u32 v11, s2, s0, v0
	s_delay_alu instid0(VALU_DEP_1) | instskip(NEXT) | instid1(VALU_DEP_3)
	v_add_co_ci_u32_e64 v12, null, s1, 0, s2
	v_mul_f32_e32 v4, v4, v9
	s_delay_alu instid0(VALU_DEP_3) | instskip(NEXT) | instid1(VALU_DEP_3)
	v_add_co_u32 v9, vcc_lo, 0x1000, v11
	v_add_co_ci_u32_e32 v10, vcc_lo, 0, v12, vcc_lo
	v_add_co_u32 v11, vcc_lo, 0x1400, v11
	v_add_co_ci_u32_e32 v12, vcc_lo, 0, v12, vcc_lo
	s_clause 0x3
	global_store_b128 v0, v[5:8], s[0:1]
	global_store_b128 v0, v[17:20], s[0:1] offset:16
	global_store_b128 v[9:10], v[25:28], off offset:1024
	global_store_b128 v[11:12], v[1:4], off offset:16
	s_nop 0
	s_sendmsg sendmsg(MSG_DEALLOC_VGPRS)
	s_endpgm
	.section	.rodata,"a",@progbits
	.p2align	6, 0x0
	.amdhsa_kernel _Z12geglu_kernelIffLi160ELi2560ELi8ELi2EEvPT_PKS0_
		.amdhsa_group_segment_fixed_size 0
		.amdhsa_private_segment_fixed_size 0
		.amdhsa_kernarg_size 16
		.amdhsa_user_sgpr_count 15
		.amdhsa_user_sgpr_dispatch_ptr 0
		.amdhsa_user_sgpr_queue_ptr 0
		.amdhsa_user_sgpr_kernarg_segment_ptr 1
		.amdhsa_user_sgpr_dispatch_id 0
		.amdhsa_user_sgpr_private_segment_size 0
		.amdhsa_wavefront_size32 1
		.amdhsa_uses_dynamic_stack 0
		.amdhsa_enable_private_segment 0
		.amdhsa_system_sgpr_workgroup_id_x 1
		.amdhsa_system_sgpr_workgroup_id_y 0
		.amdhsa_system_sgpr_workgroup_id_z 0
		.amdhsa_system_sgpr_workgroup_info 0
		.amdhsa_system_vgpr_workitem_id 0
		.amdhsa_next_free_vgpr 68
		.amdhsa_next_free_sgpr 16
		.amdhsa_reserve_vcc 1
		.amdhsa_float_round_mode_32 0
		.amdhsa_float_round_mode_16_64 0
		.amdhsa_float_denorm_mode_32 3
		.amdhsa_float_denorm_mode_16_64 3
		.amdhsa_dx10_clamp 1
		.amdhsa_ieee_mode 1
		.amdhsa_fp16_overflow 0
		.amdhsa_workgroup_processor_mode 1
		.amdhsa_memory_ordered 1
		.amdhsa_forward_progress 0
		.amdhsa_shared_vgpr_count 0
		.amdhsa_exception_fp_ieee_invalid_op 0
		.amdhsa_exception_fp_denorm_src 0
		.amdhsa_exception_fp_ieee_div_zero 0
		.amdhsa_exception_fp_ieee_overflow 0
		.amdhsa_exception_fp_ieee_underflow 0
		.amdhsa_exception_fp_ieee_inexact 0
		.amdhsa_exception_int_div_zero 0
	.end_amdhsa_kernel
	.section	.text._Z12geglu_kernelIffLi160ELi2560ELi8ELi2EEvPT_PKS0_,"axG",@progbits,_Z12geglu_kernelIffLi160ELi2560ELi8ELi2EEvPT_PKS0_,comdat
.Lfunc_end4:
	.size	_Z12geglu_kernelIffLi160ELi2560ELi8ELi2EEvPT_PKS0_, .Lfunc_end4-_Z12geglu_kernelIffLi160ELi2560ELi8ELi2EEvPT_PKS0_
                                        ; -- End function
	.section	.AMDGPU.csdata,"",@progbits
; Kernel info:
; codeLenInByte = 6208
; NumSgprs: 18
; NumVgprs: 68
; ScratchSize: 0
; MemoryBound: 0
; FloatMode: 240
; IeeeMode: 1
; LDSByteSize: 0 bytes/workgroup (compile time only)
; SGPRBlocks: 2
; VGPRBlocks: 8
; NumSGPRsForWavesPerEU: 18
; NumVGPRsForWavesPerEU: 68
; Occupancy: 16
; WaveLimiterHint : 1
; COMPUTE_PGM_RSRC2:SCRATCH_EN: 0
; COMPUTE_PGM_RSRC2:USER_SGPR: 15
; COMPUTE_PGM_RSRC2:TRAP_HANDLER: 0
; COMPUTE_PGM_RSRC2:TGID_X_EN: 1
; COMPUTE_PGM_RSRC2:TGID_Y_EN: 0
; COMPUTE_PGM_RSRC2:TGID_Z_EN: 0
; COMPUTE_PGM_RSRC2:TIDIG_COMP_CNT: 0
	.section	.text._Z12geglu_kernelIffLi160ELi5120ELi8ELi2EEvPT_PKS0_,"axG",@progbits,_Z12geglu_kernelIffLi160ELi5120ELi8ELi2EEvPT_PKS0_,comdat
	.protected	_Z12geglu_kernelIffLi160ELi5120ELi8ELi2EEvPT_PKS0_ ; -- Begin function _Z12geglu_kernelIffLi160ELi5120ELi8ELi2EEvPT_PKS0_
	.globl	_Z12geglu_kernelIffLi160ELi5120ELi8ELi2EEvPT_PKS0_
	.p2align	8
	.type	_Z12geglu_kernelIffLi160ELi5120ELi8ELi2EEvPT_PKS0_,@function
_Z12geglu_kernelIffLi160ELi5120ELi8ELi2EEvPT_PKS0_: ; @_Z12geglu_kernelIffLi160ELi5120ELi8ELi2EEvPT_PKS0_
; %bb.0:
	s_load_b128 s[0:3], s[0:1], 0x0
	s_lshl_b32 s4, s15, 1
	s_and_b32 s6, s15, 0x7ffffffe
	s_and_b32 s4, s4, 2
	s_mul_hi_u32 s5, s6, 0x5000
	v_mad_u64_u32 v[1:2], null, 0xa0, s4, v[0:1]
	s_mul_i32 s4, s6, 0x5000
                                        ; implicit-def: $vgpr35
	s_delay_alu instid0(VALU_DEP_1) | instskip(SKIP_4) | instid1(SALU_CYCLE_1)
	v_lshlrev_b32_e32 v0, 5, v1
	s_waitcnt lgkmcnt(0)
	s_add_u32 s4, s2, s4
	s_addc_u32 s5, s3, s5
	s_or_b32 s6, s6, 1
	s_mul_i32 s7, s6, 0x5000
	s_mul_hi_u32 s6, s6, 0x5000
	s_add_u32 s2, s2, s7
	s_addc_u32 s3, s3, s6
	global_load_b128 v[8:11], v0, s[2:3]
	s_waitcnt vmcnt(0)
	v_dual_mul_f32 v34, 0x3f3504f3, v8 :: v_dual_lshlrev_b32 v33, 3, v1
	s_delay_alu instid0(VALU_DEP_1) | instskip(NEXT) | instid1(VALU_DEP_1)
	v_add_nc_u32_e32 v1, 0x500, v33
	v_lshlrev_b32_e32 v32, 2, v1
	s_clause 0x6
	global_load_b128 v[20:23], v0, s[2:3] offset:16
	global_load_b128 v[16:19], v0, s[4:5] offset:16
	global_load_b128 v[4:7], v0, s[4:5]
	global_load_b128 v[0:3], v32, s[4:5] offset:16
	global_load_b128 v[24:27], v32, s[4:5]
	;; [unrolled: 2-line block ×3, first 2 shown]
	v_cmp_nlt_f32_e64 s2, |v34|, 1.0
	s_delay_alu instid0(VALU_DEP_1) | instskip(NEXT) | instid1(SALU_CYCLE_1)
	s_and_saveexec_b32 s3, s2
	s_xor_b32 s2, exec_lo, s3
	s_cbranch_execz .LBB5_2
; %bb.1:
	s_mov_b32 s3, 0x378e98ab
	s_delay_alu instid0(SALU_CYCLE_1) | instskip(NEXT) | instid1(VALU_DEP_1)
	v_fma_f32 v35, |v34|, s3, 0xb9c68948
	v_fma_f32 v35, |v34|, v35, 0x3b7cd369
	s_delay_alu instid0(VALU_DEP_1) | instskip(NEXT) | instid1(VALU_DEP_1)
	v_fma_f32 v35, |v34|, v35, 0xbcc618b2
	v_fma_f32 v35, |v34|, v35, 0x3dda74e4
	s_delay_alu instid0(VALU_DEP_1) | instskip(NEXT) | instid1(VALU_DEP_1)
	;; [unrolled: 3-line block ×3, first 2 shown]
	v_fma_f32 v35, |v34|, v35, |v34|
	v_mul_f32_e32 v36, 0xbfb8aa3b, v35
	v_cmp_nlt_f32_e32 vcc_lo, 0x42ce8ed0, v35
	s_delay_alu instid0(VALU_DEP_2) | instskip(SKIP_1) | instid1(VALU_DEP_1)
	v_fma_f32 v37, 0xbfb8aa3b, v35, -v36
	v_rndne_f32_e32 v38, v36
	v_dual_fmamk_f32 v37, v35, 0xb2a5705f, v37 :: v_dual_sub_f32 v36, v36, v38
	s_delay_alu instid0(VALU_DEP_1) | instskip(SKIP_1) | instid1(VALU_DEP_2)
	v_add_f32_e32 v36, v36, v37
	v_cvt_i32_f32_e32 v37, v38
	v_exp_f32_e32 v36, v36
	s_waitcnt_depctr 0xfff
	v_ldexp_f32 v36, v36, v37
	s_delay_alu instid0(VALU_DEP_1) | instskip(SKIP_1) | instid1(VALU_DEP_2)
	v_cndmask_b32_e32 v36, 0, v36, vcc_lo
	v_cmp_ngt_f32_e32 vcc_lo, 0xc2b17218, v35
	v_cndmask_b32_e32 v35, 0x7f800000, v36, vcc_lo
	s_delay_alu instid0(VALU_DEP_1)
	v_sub_f32_e32 v35, 1.0, v35
.LBB5_2:
	s_and_not1_saveexec_b32 s2, s2
; %bb.3:
	v_mul_f32_e32 v35, v34, v34
	s_mov_b32 s3, 0xba1345e1
	s_delay_alu instid0(VALU_DEP_1) | instid1(SALU_CYCLE_1)
	v_fmaak_f32 v36, s3, v35, 0x3ba10414
	s_delay_alu instid0(VALU_DEP_1) | instskip(NEXT) | instid1(VALU_DEP_1)
	v_fmaak_f32 v36, v35, v36, 0xbcdac9b8
	v_fmaak_f32 v36, v35, v36, 0x3de703be
	s_delay_alu instid0(VALU_DEP_1) | instskip(NEXT) | instid1(VALU_DEP_1)
	v_fmaak_f32 v36, v35, v36, 0xbec09330
	v_fmaak_f32 v35, v35, v36, 0x3e0375d0
	s_delay_alu instid0(VALU_DEP_1)
	v_fma_f32 v35, |v34|, v35, |v34|
; %bb.4:
	s_or_b32 exec_lo, exec_lo, s2
	v_mul_f32_e32 v36, 0x3f3504f3, v9
                                        ; implicit-def: $vgpr37
	s_delay_alu instid0(VALU_DEP_1) | instskip(NEXT) | instid1(VALU_DEP_1)
	v_cmp_nlt_f32_e64 s2, |v36|, 1.0
	s_and_saveexec_b32 s3, s2
	s_delay_alu instid0(SALU_CYCLE_1)
	s_xor_b32 s2, exec_lo, s3
	s_cbranch_execz .LBB5_6
; %bb.5:
	s_mov_b32 s3, 0x378e98ab
	s_delay_alu instid0(SALU_CYCLE_1) | instskip(NEXT) | instid1(VALU_DEP_1)
	v_fma_f32 v37, |v36|, s3, 0xb9c68948
	v_fma_f32 v37, |v36|, v37, 0x3b7cd369
	s_delay_alu instid0(VALU_DEP_1) | instskip(NEXT) | instid1(VALU_DEP_1)
	v_fma_f32 v37, |v36|, v37, 0xbcc618b2
	v_fma_f32 v37, |v36|, v37, 0x3dda74e4
	s_delay_alu instid0(VALU_DEP_1) | instskip(NEXT) | instid1(VALU_DEP_1)
	;; [unrolled: 3-line block ×3, first 2 shown]
	v_fma_f32 v37, |v36|, v37, |v36|
	v_mul_f32_e32 v38, 0xbfb8aa3b, v37
	v_cmp_nlt_f32_e32 vcc_lo, 0x42ce8ed0, v37
	s_delay_alu instid0(VALU_DEP_2) | instskip(SKIP_1) | instid1(VALU_DEP_1)
	v_fma_f32 v39, 0xbfb8aa3b, v37, -v38
	v_rndne_f32_e32 v40, v38
	v_dual_fmamk_f32 v39, v37, 0xb2a5705f, v39 :: v_dual_sub_f32 v38, v38, v40
	s_delay_alu instid0(VALU_DEP_1) | instskip(SKIP_1) | instid1(VALU_DEP_2)
	v_add_f32_e32 v38, v38, v39
	v_cvt_i32_f32_e32 v39, v40
	v_exp_f32_e32 v38, v38
	s_waitcnt_depctr 0xfff
	v_ldexp_f32 v38, v38, v39
	s_delay_alu instid0(VALU_DEP_1) | instskip(SKIP_1) | instid1(VALU_DEP_2)
	v_cndmask_b32_e32 v38, 0, v38, vcc_lo
	v_cmp_ngt_f32_e32 vcc_lo, 0xc2b17218, v37
	v_cndmask_b32_e32 v37, 0x7f800000, v38, vcc_lo
	s_delay_alu instid0(VALU_DEP_1)
	v_sub_f32_e32 v37, 1.0, v37
.LBB5_6:
	s_and_not1_saveexec_b32 s2, s2
; %bb.7:
	v_mul_f32_e32 v37, v36, v36
	s_mov_b32 s3, 0xba1345e1
	s_delay_alu instid0(VALU_DEP_1) | instid1(SALU_CYCLE_1)
	v_fmaak_f32 v38, s3, v37, 0x3ba10414
	s_delay_alu instid0(VALU_DEP_1) | instskip(NEXT) | instid1(VALU_DEP_1)
	v_fmaak_f32 v38, v37, v38, 0xbcdac9b8
	v_fmaak_f32 v38, v37, v38, 0x3de703be
	s_delay_alu instid0(VALU_DEP_1) | instskip(NEXT) | instid1(VALU_DEP_1)
	v_fmaak_f32 v38, v37, v38, 0xbec09330
	v_fmaak_f32 v37, v37, v38, 0x3e0375d0
	s_delay_alu instid0(VALU_DEP_1)
	v_fma_f32 v37, |v36|, v37, |v36|
; %bb.8:
	s_or_b32 exec_lo, exec_lo, s2
	v_mul_f32_e32 v38, 0x3f3504f3, v10
                                        ; implicit-def: $vgpr39
	s_delay_alu instid0(VALU_DEP_1) | instskip(NEXT) | instid1(VALU_DEP_1)
	v_cmp_nlt_f32_e64 s2, |v38|, 1.0
	s_and_saveexec_b32 s3, s2
	s_delay_alu instid0(SALU_CYCLE_1)
	s_xor_b32 s2, exec_lo, s3
	s_cbranch_execz .LBB5_10
; %bb.9:
	s_mov_b32 s3, 0x378e98ab
	s_delay_alu instid0(SALU_CYCLE_1) | instskip(NEXT) | instid1(VALU_DEP_1)
	v_fma_f32 v39, |v38|, s3, 0xb9c68948
	v_fma_f32 v39, |v38|, v39, 0x3b7cd369
	s_delay_alu instid0(VALU_DEP_1) | instskip(NEXT) | instid1(VALU_DEP_1)
	v_fma_f32 v39, |v38|, v39, 0xbcc618b2
	v_fma_f32 v39, |v38|, v39, 0x3dda74e4
	s_delay_alu instid0(VALU_DEP_1) | instskip(NEXT) | instid1(VALU_DEP_1)
	;; [unrolled: 3-line block ×3, first 2 shown]
	v_fma_f32 v39, |v38|, v39, |v38|
	v_mul_f32_e32 v40, 0xbfb8aa3b, v39
	v_cmp_nlt_f32_e32 vcc_lo, 0x42ce8ed0, v39
	s_delay_alu instid0(VALU_DEP_2) | instskip(SKIP_1) | instid1(VALU_DEP_1)
	v_fma_f32 v41, 0xbfb8aa3b, v39, -v40
	v_rndne_f32_e32 v42, v40
	v_dual_fmamk_f32 v41, v39, 0xb2a5705f, v41 :: v_dual_sub_f32 v40, v40, v42
	s_delay_alu instid0(VALU_DEP_1) | instskip(SKIP_1) | instid1(VALU_DEP_2)
	v_add_f32_e32 v40, v40, v41
	v_cvt_i32_f32_e32 v41, v42
	v_exp_f32_e32 v40, v40
	s_waitcnt_depctr 0xfff
	v_ldexp_f32 v40, v40, v41
	s_delay_alu instid0(VALU_DEP_1) | instskip(SKIP_1) | instid1(VALU_DEP_2)
	v_cndmask_b32_e32 v40, 0, v40, vcc_lo
	v_cmp_ngt_f32_e32 vcc_lo, 0xc2b17218, v39
	v_cndmask_b32_e32 v39, 0x7f800000, v40, vcc_lo
	s_delay_alu instid0(VALU_DEP_1)
	v_sub_f32_e32 v39, 1.0, v39
.LBB5_10:
	s_and_not1_saveexec_b32 s2, s2
; %bb.11:
	v_mul_f32_e32 v39, v38, v38
	s_mov_b32 s3, 0xba1345e1
	s_delay_alu instid0(VALU_DEP_1) | instid1(SALU_CYCLE_1)
	v_fmaak_f32 v40, s3, v39, 0x3ba10414
	s_delay_alu instid0(VALU_DEP_1) | instskip(NEXT) | instid1(VALU_DEP_1)
	v_fmaak_f32 v40, v39, v40, 0xbcdac9b8
	v_fmaak_f32 v40, v39, v40, 0x3de703be
	s_delay_alu instid0(VALU_DEP_1) | instskip(NEXT) | instid1(VALU_DEP_1)
	v_fmaak_f32 v40, v39, v40, 0xbec09330
	v_fmaak_f32 v39, v39, v40, 0x3e0375d0
	s_delay_alu instid0(VALU_DEP_1)
	v_fma_f32 v39, |v38|, v39, |v38|
; %bb.12:
	s_or_b32 exec_lo, exec_lo, s2
	v_mul_f32_e32 v40, 0x3f3504f3, v11
                                        ; implicit-def: $vgpr41
	s_delay_alu instid0(VALU_DEP_1) | instskip(NEXT) | instid1(VALU_DEP_1)
	v_cmp_nlt_f32_e64 s2, |v40|, 1.0
	s_and_saveexec_b32 s3, s2
	s_delay_alu instid0(SALU_CYCLE_1)
	s_xor_b32 s2, exec_lo, s3
	s_cbranch_execz .LBB5_14
; %bb.13:
	s_mov_b32 s3, 0x378e98ab
	s_delay_alu instid0(SALU_CYCLE_1) | instskip(NEXT) | instid1(VALU_DEP_1)
	v_fma_f32 v41, |v40|, s3, 0xb9c68948
	v_fma_f32 v41, |v40|, v41, 0x3b7cd369
	s_delay_alu instid0(VALU_DEP_1) | instskip(NEXT) | instid1(VALU_DEP_1)
	v_fma_f32 v41, |v40|, v41, 0xbcc618b2
	v_fma_f32 v41, |v40|, v41, 0x3dda74e4
	s_delay_alu instid0(VALU_DEP_1) | instskip(NEXT) | instid1(VALU_DEP_1)
	;; [unrolled: 3-line block ×3, first 2 shown]
	v_fma_f32 v41, |v40|, v41, |v40|
	v_mul_f32_e32 v42, 0xbfb8aa3b, v41
	v_cmp_nlt_f32_e32 vcc_lo, 0x42ce8ed0, v41
	s_delay_alu instid0(VALU_DEP_2) | instskip(SKIP_1) | instid1(VALU_DEP_1)
	v_fma_f32 v43, 0xbfb8aa3b, v41, -v42
	v_rndne_f32_e32 v44, v42
	v_dual_fmamk_f32 v43, v41, 0xb2a5705f, v43 :: v_dual_sub_f32 v42, v42, v44
	s_delay_alu instid0(VALU_DEP_1) | instskip(SKIP_1) | instid1(VALU_DEP_2)
	v_add_f32_e32 v42, v42, v43
	v_cvt_i32_f32_e32 v43, v44
	v_exp_f32_e32 v42, v42
	s_waitcnt_depctr 0xfff
	v_ldexp_f32 v42, v42, v43
	s_delay_alu instid0(VALU_DEP_1) | instskip(SKIP_1) | instid1(VALU_DEP_2)
	v_cndmask_b32_e32 v42, 0, v42, vcc_lo
	v_cmp_ngt_f32_e32 vcc_lo, 0xc2b17218, v41
	v_cndmask_b32_e32 v41, 0x7f800000, v42, vcc_lo
	s_delay_alu instid0(VALU_DEP_1)
	v_sub_f32_e32 v41, 1.0, v41
.LBB5_14:
	s_and_not1_saveexec_b32 s2, s2
; %bb.15:
	v_mul_f32_e32 v41, v40, v40
	s_mov_b32 s3, 0xba1345e1
	s_delay_alu instid0(VALU_DEP_1) | instid1(SALU_CYCLE_1)
	v_fmaak_f32 v42, s3, v41, 0x3ba10414
	s_delay_alu instid0(VALU_DEP_1) | instskip(NEXT) | instid1(VALU_DEP_1)
	v_fmaak_f32 v42, v41, v42, 0xbcdac9b8
	v_fmaak_f32 v42, v41, v42, 0x3de703be
	s_delay_alu instid0(VALU_DEP_1) | instskip(NEXT) | instid1(VALU_DEP_1)
	v_fmaak_f32 v42, v41, v42, 0xbec09330
	v_fmaak_f32 v41, v41, v42, 0x3e0375d0
	s_delay_alu instid0(VALU_DEP_1)
	v_fma_f32 v41, |v40|, v41, |v40|
; %bb.16:
	s_or_b32 exec_lo, exec_lo, s2
	s_waitcnt vmcnt(6)
	v_mul_f32_e32 v42, 0x3f3504f3, v20
                                        ; implicit-def: $vgpr43
	s_delay_alu instid0(VALU_DEP_1) | instskip(NEXT) | instid1(VALU_DEP_1)
	v_cmp_nlt_f32_e64 s2, |v42|, 1.0
	s_and_saveexec_b32 s3, s2
	s_delay_alu instid0(SALU_CYCLE_1)
	s_xor_b32 s2, exec_lo, s3
	s_cbranch_execz .LBB5_18
; %bb.17:
	s_mov_b32 s3, 0x378e98ab
	s_delay_alu instid0(SALU_CYCLE_1) | instskip(NEXT) | instid1(VALU_DEP_1)
	v_fma_f32 v43, |v42|, s3, 0xb9c68948
	v_fma_f32 v43, |v42|, v43, 0x3b7cd369
	s_delay_alu instid0(VALU_DEP_1) | instskip(NEXT) | instid1(VALU_DEP_1)
	v_fma_f32 v43, |v42|, v43, 0xbcc618b2
	v_fma_f32 v43, |v42|, v43, 0x3dda74e4
	s_delay_alu instid0(VALU_DEP_1) | instskip(NEXT) | instid1(VALU_DEP_1)
	;; [unrolled: 3-line block ×3, first 2 shown]
	v_fma_f32 v43, |v42|, v43, |v42|
	v_mul_f32_e32 v44, 0xbfb8aa3b, v43
	v_cmp_nlt_f32_e32 vcc_lo, 0x42ce8ed0, v43
	s_delay_alu instid0(VALU_DEP_2) | instskip(SKIP_1) | instid1(VALU_DEP_1)
	v_fma_f32 v45, 0xbfb8aa3b, v43, -v44
	v_rndne_f32_e32 v46, v44
	v_dual_fmamk_f32 v45, v43, 0xb2a5705f, v45 :: v_dual_sub_f32 v44, v44, v46
	s_delay_alu instid0(VALU_DEP_1) | instskip(SKIP_1) | instid1(VALU_DEP_2)
	v_add_f32_e32 v44, v44, v45
	v_cvt_i32_f32_e32 v45, v46
	v_exp_f32_e32 v44, v44
	s_waitcnt_depctr 0xfff
	v_ldexp_f32 v44, v44, v45
	s_delay_alu instid0(VALU_DEP_1) | instskip(SKIP_1) | instid1(VALU_DEP_2)
	v_cndmask_b32_e32 v44, 0, v44, vcc_lo
	v_cmp_ngt_f32_e32 vcc_lo, 0xc2b17218, v43
	v_cndmask_b32_e32 v43, 0x7f800000, v44, vcc_lo
	s_delay_alu instid0(VALU_DEP_1)
	v_sub_f32_e32 v43, 1.0, v43
.LBB5_18:
	s_and_not1_saveexec_b32 s2, s2
; %bb.19:
	v_mul_f32_e32 v43, v42, v42
	s_mov_b32 s3, 0xba1345e1
	s_delay_alu instid0(VALU_DEP_1) | instid1(SALU_CYCLE_1)
	v_fmaak_f32 v44, s3, v43, 0x3ba10414
	s_delay_alu instid0(VALU_DEP_1) | instskip(NEXT) | instid1(VALU_DEP_1)
	v_fmaak_f32 v44, v43, v44, 0xbcdac9b8
	v_fmaak_f32 v44, v43, v44, 0x3de703be
	s_delay_alu instid0(VALU_DEP_1) | instskip(NEXT) | instid1(VALU_DEP_1)
	v_fmaak_f32 v44, v43, v44, 0xbec09330
	v_fmaak_f32 v43, v43, v44, 0x3e0375d0
	s_delay_alu instid0(VALU_DEP_1)
	v_fma_f32 v43, |v42|, v43, |v42|
; %bb.20:
	s_or_b32 exec_lo, exec_lo, s2
	v_mul_f32_e32 v44, 0x3f3504f3, v21
                                        ; implicit-def: $vgpr45
	s_delay_alu instid0(VALU_DEP_1) | instskip(NEXT) | instid1(VALU_DEP_1)
	v_cmp_nlt_f32_e64 s2, |v44|, 1.0
	s_and_saveexec_b32 s3, s2
	s_delay_alu instid0(SALU_CYCLE_1)
	s_xor_b32 s2, exec_lo, s3
	s_cbranch_execz .LBB5_22
; %bb.21:
	s_mov_b32 s3, 0x378e98ab
	s_delay_alu instid0(SALU_CYCLE_1) | instskip(NEXT) | instid1(VALU_DEP_1)
	v_fma_f32 v45, |v44|, s3, 0xb9c68948
	v_fma_f32 v45, |v44|, v45, 0x3b7cd369
	s_delay_alu instid0(VALU_DEP_1) | instskip(NEXT) | instid1(VALU_DEP_1)
	v_fma_f32 v45, |v44|, v45, 0xbcc618b2
	v_fma_f32 v45, |v44|, v45, 0x3dda74e4
	s_delay_alu instid0(VALU_DEP_1) | instskip(NEXT) | instid1(VALU_DEP_1)
	;; [unrolled: 3-line block ×3, first 2 shown]
	v_fma_f32 v45, |v44|, v45, |v44|
	v_mul_f32_e32 v46, 0xbfb8aa3b, v45
	v_cmp_nlt_f32_e32 vcc_lo, 0x42ce8ed0, v45
	s_delay_alu instid0(VALU_DEP_2) | instskip(SKIP_1) | instid1(VALU_DEP_1)
	v_fma_f32 v47, 0xbfb8aa3b, v45, -v46
	v_rndne_f32_e32 v48, v46
	v_dual_fmamk_f32 v47, v45, 0xb2a5705f, v47 :: v_dual_sub_f32 v46, v46, v48
	s_delay_alu instid0(VALU_DEP_1) | instskip(SKIP_1) | instid1(VALU_DEP_2)
	v_add_f32_e32 v46, v46, v47
	v_cvt_i32_f32_e32 v47, v48
	v_exp_f32_e32 v46, v46
	s_waitcnt_depctr 0xfff
	v_ldexp_f32 v46, v46, v47
	s_delay_alu instid0(VALU_DEP_1) | instskip(SKIP_1) | instid1(VALU_DEP_2)
	v_cndmask_b32_e32 v46, 0, v46, vcc_lo
	v_cmp_ngt_f32_e32 vcc_lo, 0xc2b17218, v45
	v_cndmask_b32_e32 v45, 0x7f800000, v46, vcc_lo
	s_delay_alu instid0(VALU_DEP_1)
	v_sub_f32_e32 v45, 1.0, v45
.LBB5_22:
	s_and_not1_saveexec_b32 s2, s2
; %bb.23:
	v_mul_f32_e32 v45, v44, v44
	s_mov_b32 s3, 0xba1345e1
	s_delay_alu instid0(VALU_DEP_1) | instid1(SALU_CYCLE_1)
	v_fmaak_f32 v46, s3, v45, 0x3ba10414
	s_delay_alu instid0(VALU_DEP_1) | instskip(NEXT) | instid1(VALU_DEP_1)
	v_fmaak_f32 v46, v45, v46, 0xbcdac9b8
	v_fmaak_f32 v46, v45, v46, 0x3de703be
	s_delay_alu instid0(VALU_DEP_1) | instskip(NEXT) | instid1(VALU_DEP_1)
	v_fmaak_f32 v46, v45, v46, 0xbec09330
	v_fmaak_f32 v45, v45, v46, 0x3e0375d0
	s_delay_alu instid0(VALU_DEP_1)
	v_fma_f32 v45, |v44|, v45, |v44|
; %bb.24:
	s_or_b32 exec_lo, exec_lo, s2
	v_mul_f32_e32 v46, 0x3f3504f3, v22
                                        ; implicit-def: $vgpr47
	s_delay_alu instid0(VALU_DEP_1) | instskip(NEXT) | instid1(VALU_DEP_1)
	v_cmp_nlt_f32_e64 s2, |v46|, 1.0
	s_and_saveexec_b32 s3, s2
	s_delay_alu instid0(SALU_CYCLE_1)
	s_xor_b32 s2, exec_lo, s3
	s_cbranch_execz .LBB5_26
; %bb.25:
	s_mov_b32 s3, 0x378e98ab
	s_delay_alu instid0(SALU_CYCLE_1) | instskip(NEXT) | instid1(VALU_DEP_1)
	v_fma_f32 v47, |v46|, s3, 0xb9c68948
	v_fma_f32 v47, |v46|, v47, 0x3b7cd369
	s_delay_alu instid0(VALU_DEP_1) | instskip(NEXT) | instid1(VALU_DEP_1)
	v_fma_f32 v47, |v46|, v47, 0xbcc618b2
	v_fma_f32 v47, |v46|, v47, 0x3dda74e4
	s_delay_alu instid0(VALU_DEP_1) | instskip(NEXT) | instid1(VALU_DEP_1)
	;; [unrolled: 3-line block ×3, first 2 shown]
	v_fma_f32 v47, |v46|, v47, |v46|
	v_mul_f32_e32 v48, 0xbfb8aa3b, v47
	v_cmp_nlt_f32_e32 vcc_lo, 0x42ce8ed0, v47
	s_delay_alu instid0(VALU_DEP_2) | instskip(SKIP_1) | instid1(VALU_DEP_1)
	v_fma_f32 v49, 0xbfb8aa3b, v47, -v48
	v_rndne_f32_e32 v50, v48
	v_dual_fmamk_f32 v49, v47, 0xb2a5705f, v49 :: v_dual_sub_f32 v48, v48, v50
	s_delay_alu instid0(VALU_DEP_1) | instskip(SKIP_1) | instid1(VALU_DEP_2)
	v_add_f32_e32 v48, v48, v49
	v_cvt_i32_f32_e32 v49, v50
	v_exp_f32_e32 v48, v48
	s_waitcnt_depctr 0xfff
	v_ldexp_f32 v48, v48, v49
	s_delay_alu instid0(VALU_DEP_1) | instskip(SKIP_1) | instid1(VALU_DEP_2)
	v_cndmask_b32_e32 v48, 0, v48, vcc_lo
	v_cmp_ngt_f32_e32 vcc_lo, 0xc2b17218, v47
	v_cndmask_b32_e32 v47, 0x7f800000, v48, vcc_lo
	s_delay_alu instid0(VALU_DEP_1)
	v_sub_f32_e32 v47, 1.0, v47
.LBB5_26:
	s_and_not1_saveexec_b32 s2, s2
; %bb.27:
	v_mul_f32_e32 v47, v46, v46
	s_mov_b32 s3, 0xba1345e1
	s_delay_alu instid0(VALU_DEP_1) | instid1(SALU_CYCLE_1)
	v_fmaak_f32 v48, s3, v47, 0x3ba10414
	s_delay_alu instid0(VALU_DEP_1) | instskip(NEXT) | instid1(VALU_DEP_1)
	v_fmaak_f32 v48, v47, v48, 0xbcdac9b8
	v_fmaak_f32 v48, v47, v48, 0x3de703be
	s_delay_alu instid0(VALU_DEP_1) | instskip(NEXT) | instid1(VALU_DEP_1)
	v_fmaak_f32 v48, v47, v48, 0xbec09330
	v_fmaak_f32 v47, v47, v48, 0x3e0375d0
	s_delay_alu instid0(VALU_DEP_1)
	v_fma_f32 v47, |v46|, v47, |v46|
; %bb.28:
	s_or_b32 exec_lo, exec_lo, s2
	v_mul_f32_e32 v48, 0x3f3504f3, v23
                                        ; implicit-def: $vgpr49
	s_delay_alu instid0(VALU_DEP_1) | instskip(NEXT) | instid1(VALU_DEP_1)
	v_cmp_nlt_f32_e64 s2, |v48|, 1.0
	s_and_saveexec_b32 s3, s2
	s_delay_alu instid0(SALU_CYCLE_1)
	s_xor_b32 s2, exec_lo, s3
	s_cbranch_execz .LBB5_30
; %bb.29:
	s_mov_b32 s3, 0x378e98ab
	s_delay_alu instid0(SALU_CYCLE_1) | instskip(NEXT) | instid1(VALU_DEP_1)
	v_fma_f32 v49, |v48|, s3, 0xb9c68948
	v_fma_f32 v49, |v48|, v49, 0x3b7cd369
	s_delay_alu instid0(VALU_DEP_1) | instskip(NEXT) | instid1(VALU_DEP_1)
	v_fma_f32 v49, |v48|, v49, 0xbcc618b2
	v_fma_f32 v49, |v48|, v49, 0x3dda74e4
	s_delay_alu instid0(VALU_DEP_1) | instskip(NEXT) | instid1(VALU_DEP_1)
	;; [unrolled: 3-line block ×3, first 2 shown]
	v_fma_f32 v49, |v48|, v49, |v48|
	v_mul_f32_e32 v50, 0xbfb8aa3b, v49
	v_cmp_nlt_f32_e32 vcc_lo, 0x42ce8ed0, v49
	s_delay_alu instid0(VALU_DEP_2) | instskip(SKIP_1) | instid1(VALU_DEP_1)
	v_fma_f32 v51, 0xbfb8aa3b, v49, -v50
	v_rndne_f32_e32 v52, v50
	v_dual_fmamk_f32 v51, v49, 0xb2a5705f, v51 :: v_dual_sub_f32 v50, v50, v52
	s_delay_alu instid0(VALU_DEP_1) | instskip(SKIP_1) | instid1(VALU_DEP_2)
	v_add_f32_e32 v50, v50, v51
	v_cvt_i32_f32_e32 v51, v52
	v_exp_f32_e32 v50, v50
	s_waitcnt_depctr 0xfff
	v_ldexp_f32 v50, v50, v51
	s_delay_alu instid0(VALU_DEP_1) | instskip(SKIP_1) | instid1(VALU_DEP_2)
	v_cndmask_b32_e32 v50, 0, v50, vcc_lo
	v_cmp_ngt_f32_e32 vcc_lo, 0xc2b17218, v49
	v_cndmask_b32_e32 v49, 0x7f800000, v50, vcc_lo
	s_delay_alu instid0(VALU_DEP_1)
	v_sub_f32_e32 v49, 1.0, v49
.LBB5_30:
	s_and_not1_saveexec_b32 s2, s2
; %bb.31:
	v_mul_f32_e32 v49, v48, v48
	s_mov_b32 s3, 0xba1345e1
	s_delay_alu instid0(VALU_DEP_1) | instid1(SALU_CYCLE_1)
	v_fmaak_f32 v50, s3, v49, 0x3ba10414
	s_delay_alu instid0(VALU_DEP_1) | instskip(NEXT) | instid1(VALU_DEP_1)
	v_fmaak_f32 v50, v49, v50, 0xbcdac9b8
	v_fmaak_f32 v50, v49, v50, 0x3de703be
	s_delay_alu instid0(VALU_DEP_1) | instskip(NEXT) | instid1(VALU_DEP_1)
	v_fmaak_f32 v50, v49, v50, 0xbec09330
	v_fmaak_f32 v49, v49, v50, 0x3e0375d0
	s_delay_alu instid0(VALU_DEP_1)
	v_fma_f32 v49, |v48|, v49, |v48|
; %bb.32:
	s_or_b32 exec_lo, exec_lo, s2
	s_waitcnt vmcnt(0)
	v_mul_f32_e32 v50, 0x3f3504f3, v28
                                        ; implicit-def: $vgpr51
	s_delay_alu instid0(VALU_DEP_1) | instskip(NEXT) | instid1(VALU_DEP_1)
	v_cmp_nlt_f32_e64 s2, |v50|, 1.0
	s_and_saveexec_b32 s3, s2
	s_delay_alu instid0(SALU_CYCLE_1)
	s_xor_b32 s2, exec_lo, s3
	s_cbranch_execz .LBB5_34
; %bb.33:
	s_mov_b32 s3, 0x378e98ab
	s_delay_alu instid0(SALU_CYCLE_1) | instskip(NEXT) | instid1(VALU_DEP_1)
	v_fma_f32 v51, |v50|, s3, 0xb9c68948
	v_fma_f32 v51, |v50|, v51, 0x3b7cd369
	s_delay_alu instid0(VALU_DEP_1) | instskip(NEXT) | instid1(VALU_DEP_1)
	v_fma_f32 v51, |v50|, v51, 0xbcc618b2
	v_fma_f32 v51, |v50|, v51, 0x3dda74e4
	s_delay_alu instid0(VALU_DEP_1) | instskip(NEXT) | instid1(VALU_DEP_1)
	v_fma_f32 v51, |v50|, v51, 0x3f228afd
	v_fma_f32 v51, |v50|, v51, 0x3e03c728
	s_delay_alu instid0(VALU_DEP_1) | instskip(NEXT) | instid1(VALU_DEP_1)
	v_fma_f32 v51, |v50|, v51, |v50|
	v_mul_f32_e32 v52, 0xbfb8aa3b, v51
	v_cmp_nlt_f32_e32 vcc_lo, 0x42ce8ed0, v51
	s_delay_alu instid0(VALU_DEP_2) | instskip(SKIP_1) | instid1(VALU_DEP_1)
	v_fma_f32 v53, 0xbfb8aa3b, v51, -v52
	v_rndne_f32_e32 v54, v52
	v_dual_fmamk_f32 v53, v51, 0xb2a5705f, v53 :: v_dual_sub_f32 v52, v52, v54
	s_delay_alu instid0(VALU_DEP_1) | instskip(SKIP_1) | instid1(VALU_DEP_2)
	v_add_f32_e32 v52, v52, v53
	v_cvt_i32_f32_e32 v53, v54
	v_exp_f32_e32 v52, v52
	s_waitcnt_depctr 0xfff
	v_ldexp_f32 v52, v52, v53
	s_delay_alu instid0(VALU_DEP_1) | instskip(SKIP_1) | instid1(VALU_DEP_2)
	v_cndmask_b32_e32 v52, 0, v52, vcc_lo
	v_cmp_ngt_f32_e32 vcc_lo, 0xc2b17218, v51
	v_cndmask_b32_e32 v51, 0x7f800000, v52, vcc_lo
	s_delay_alu instid0(VALU_DEP_1)
	v_sub_f32_e32 v51, 1.0, v51
.LBB5_34:
	s_and_not1_saveexec_b32 s2, s2
; %bb.35:
	v_mul_f32_e32 v51, v50, v50
	s_mov_b32 s3, 0xba1345e1
	s_delay_alu instid0(VALU_DEP_1) | instid1(SALU_CYCLE_1)
	v_fmaak_f32 v52, s3, v51, 0x3ba10414
	s_delay_alu instid0(VALU_DEP_1) | instskip(NEXT) | instid1(VALU_DEP_1)
	v_fmaak_f32 v52, v51, v52, 0xbcdac9b8
	v_fmaak_f32 v52, v51, v52, 0x3de703be
	s_delay_alu instid0(VALU_DEP_1) | instskip(NEXT) | instid1(VALU_DEP_1)
	v_fmaak_f32 v52, v51, v52, 0xbec09330
	v_fmaak_f32 v51, v51, v52, 0x3e0375d0
	s_delay_alu instid0(VALU_DEP_1)
	v_fma_f32 v51, |v50|, v51, |v50|
; %bb.36:
	s_or_b32 exec_lo, exec_lo, s2
	v_mul_f32_e32 v52, 0x3f3504f3, v29
                                        ; implicit-def: $vgpr53
	s_delay_alu instid0(VALU_DEP_1) | instskip(NEXT) | instid1(VALU_DEP_1)
	v_cmp_nlt_f32_e64 s2, |v52|, 1.0
	s_and_saveexec_b32 s3, s2
	s_delay_alu instid0(SALU_CYCLE_1)
	s_xor_b32 s2, exec_lo, s3
	s_cbranch_execz .LBB5_38
; %bb.37:
	s_mov_b32 s3, 0x378e98ab
	s_delay_alu instid0(SALU_CYCLE_1) | instskip(NEXT) | instid1(VALU_DEP_1)
	v_fma_f32 v53, |v52|, s3, 0xb9c68948
	v_fma_f32 v53, |v52|, v53, 0x3b7cd369
	s_delay_alu instid0(VALU_DEP_1) | instskip(NEXT) | instid1(VALU_DEP_1)
	v_fma_f32 v53, |v52|, v53, 0xbcc618b2
	v_fma_f32 v53, |v52|, v53, 0x3dda74e4
	s_delay_alu instid0(VALU_DEP_1) | instskip(NEXT) | instid1(VALU_DEP_1)
	;; [unrolled: 3-line block ×3, first 2 shown]
	v_fma_f32 v53, |v52|, v53, |v52|
	v_mul_f32_e32 v54, 0xbfb8aa3b, v53
	v_cmp_nlt_f32_e32 vcc_lo, 0x42ce8ed0, v53
	s_delay_alu instid0(VALU_DEP_2) | instskip(SKIP_1) | instid1(VALU_DEP_1)
	v_fma_f32 v55, 0xbfb8aa3b, v53, -v54
	v_rndne_f32_e32 v56, v54
	v_dual_fmamk_f32 v55, v53, 0xb2a5705f, v55 :: v_dual_sub_f32 v54, v54, v56
	s_delay_alu instid0(VALU_DEP_1) | instskip(SKIP_1) | instid1(VALU_DEP_2)
	v_add_f32_e32 v54, v54, v55
	v_cvt_i32_f32_e32 v55, v56
	v_exp_f32_e32 v54, v54
	s_waitcnt_depctr 0xfff
	v_ldexp_f32 v54, v54, v55
	s_delay_alu instid0(VALU_DEP_1) | instskip(SKIP_1) | instid1(VALU_DEP_2)
	v_cndmask_b32_e32 v54, 0, v54, vcc_lo
	v_cmp_ngt_f32_e32 vcc_lo, 0xc2b17218, v53
	v_cndmask_b32_e32 v53, 0x7f800000, v54, vcc_lo
	s_delay_alu instid0(VALU_DEP_1)
	v_sub_f32_e32 v53, 1.0, v53
.LBB5_38:
	s_and_not1_saveexec_b32 s2, s2
; %bb.39:
	v_mul_f32_e32 v53, v52, v52
	s_mov_b32 s3, 0xba1345e1
	s_delay_alu instid0(VALU_DEP_1) | instid1(SALU_CYCLE_1)
	v_fmaak_f32 v54, s3, v53, 0x3ba10414
	s_delay_alu instid0(VALU_DEP_1) | instskip(NEXT) | instid1(VALU_DEP_1)
	v_fmaak_f32 v54, v53, v54, 0xbcdac9b8
	v_fmaak_f32 v54, v53, v54, 0x3de703be
	s_delay_alu instid0(VALU_DEP_1) | instskip(NEXT) | instid1(VALU_DEP_1)
	v_fmaak_f32 v54, v53, v54, 0xbec09330
	v_fmaak_f32 v53, v53, v54, 0x3e0375d0
	s_delay_alu instid0(VALU_DEP_1)
	v_fma_f32 v53, |v52|, v53, |v52|
; %bb.40:
	s_or_b32 exec_lo, exec_lo, s2
	v_mul_f32_e32 v54, 0x3f3504f3, v30
                                        ; implicit-def: $vgpr55
	s_delay_alu instid0(VALU_DEP_1) | instskip(NEXT) | instid1(VALU_DEP_1)
	v_cmp_nlt_f32_e64 s2, |v54|, 1.0
	s_and_saveexec_b32 s3, s2
	s_delay_alu instid0(SALU_CYCLE_1)
	s_xor_b32 s2, exec_lo, s3
	s_cbranch_execz .LBB5_42
; %bb.41:
	s_mov_b32 s3, 0x378e98ab
	s_delay_alu instid0(SALU_CYCLE_1) | instskip(NEXT) | instid1(VALU_DEP_1)
	v_fma_f32 v55, |v54|, s3, 0xb9c68948
	v_fma_f32 v55, |v54|, v55, 0x3b7cd369
	s_delay_alu instid0(VALU_DEP_1) | instskip(NEXT) | instid1(VALU_DEP_1)
	v_fma_f32 v55, |v54|, v55, 0xbcc618b2
	v_fma_f32 v55, |v54|, v55, 0x3dda74e4
	s_delay_alu instid0(VALU_DEP_1) | instskip(NEXT) | instid1(VALU_DEP_1)
	;; [unrolled: 3-line block ×3, first 2 shown]
	v_fma_f32 v55, |v54|, v55, |v54|
	v_mul_f32_e32 v56, 0xbfb8aa3b, v55
	v_cmp_nlt_f32_e32 vcc_lo, 0x42ce8ed0, v55
	s_delay_alu instid0(VALU_DEP_2) | instskip(SKIP_1) | instid1(VALU_DEP_1)
	v_fma_f32 v57, 0xbfb8aa3b, v55, -v56
	v_rndne_f32_e32 v58, v56
	v_dual_fmamk_f32 v57, v55, 0xb2a5705f, v57 :: v_dual_sub_f32 v56, v56, v58
	s_delay_alu instid0(VALU_DEP_1) | instskip(SKIP_1) | instid1(VALU_DEP_2)
	v_add_f32_e32 v56, v56, v57
	v_cvt_i32_f32_e32 v57, v58
	v_exp_f32_e32 v56, v56
	s_waitcnt_depctr 0xfff
	v_ldexp_f32 v56, v56, v57
	s_delay_alu instid0(VALU_DEP_1) | instskip(SKIP_1) | instid1(VALU_DEP_2)
	v_cndmask_b32_e32 v56, 0, v56, vcc_lo
	v_cmp_ngt_f32_e32 vcc_lo, 0xc2b17218, v55
	v_cndmask_b32_e32 v55, 0x7f800000, v56, vcc_lo
	s_delay_alu instid0(VALU_DEP_1)
	v_sub_f32_e32 v55, 1.0, v55
.LBB5_42:
	s_and_not1_saveexec_b32 s2, s2
; %bb.43:
	v_mul_f32_e32 v55, v54, v54
	s_mov_b32 s3, 0xba1345e1
	s_delay_alu instid0(VALU_DEP_1) | instid1(SALU_CYCLE_1)
	v_fmaak_f32 v56, s3, v55, 0x3ba10414
	s_delay_alu instid0(VALU_DEP_1) | instskip(NEXT) | instid1(VALU_DEP_1)
	v_fmaak_f32 v56, v55, v56, 0xbcdac9b8
	v_fmaak_f32 v56, v55, v56, 0x3de703be
	s_delay_alu instid0(VALU_DEP_1) | instskip(NEXT) | instid1(VALU_DEP_1)
	v_fmaak_f32 v56, v55, v56, 0xbec09330
	v_fmaak_f32 v55, v55, v56, 0x3e0375d0
	s_delay_alu instid0(VALU_DEP_1)
	v_fma_f32 v55, |v54|, v55, |v54|
; %bb.44:
	s_or_b32 exec_lo, exec_lo, s2
	v_mul_f32_e32 v56, 0x3f3504f3, v31
                                        ; implicit-def: $vgpr57
	s_delay_alu instid0(VALU_DEP_1) | instskip(NEXT) | instid1(VALU_DEP_1)
	v_cmp_nlt_f32_e64 s2, |v56|, 1.0
	s_and_saveexec_b32 s3, s2
	s_delay_alu instid0(SALU_CYCLE_1)
	s_xor_b32 s2, exec_lo, s3
	s_cbranch_execz .LBB5_46
; %bb.45:
	s_mov_b32 s3, 0x378e98ab
	s_delay_alu instid0(SALU_CYCLE_1) | instskip(NEXT) | instid1(VALU_DEP_1)
	v_fma_f32 v57, |v56|, s3, 0xb9c68948
	v_fma_f32 v57, |v56|, v57, 0x3b7cd369
	s_delay_alu instid0(VALU_DEP_1) | instskip(NEXT) | instid1(VALU_DEP_1)
	v_fma_f32 v57, |v56|, v57, 0xbcc618b2
	v_fma_f32 v57, |v56|, v57, 0x3dda74e4
	s_delay_alu instid0(VALU_DEP_1) | instskip(NEXT) | instid1(VALU_DEP_1)
	;; [unrolled: 3-line block ×3, first 2 shown]
	v_fma_f32 v57, |v56|, v57, |v56|
	v_mul_f32_e32 v58, 0xbfb8aa3b, v57
	v_cmp_nlt_f32_e32 vcc_lo, 0x42ce8ed0, v57
	s_delay_alu instid0(VALU_DEP_2) | instskip(SKIP_1) | instid1(VALU_DEP_1)
	v_fma_f32 v59, 0xbfb8aa3b, v57, -v58
	v_rndne_f32_e32 v60, v58
	v_dual_fmamk_f32 v59, v57, 0xb2a5705f, v59 :: v_dual_sub_f32 v58, v58, v60
	s_delay_alu instid0(VALU_DEP_1) | instskip(SKIP_1) | instid1(VALU_DEP_2)
	v_add_f32_e32 v58, v58, v59
	v_cvt_i32_f32_e32 v59, v60
	v_exp_f32_e32 v58, v58
	s_waitcnt_depctr 0xfff
	v_ldexp_f32 v58, v58, v59
	s_delay_alu instid0(VALU_DEP_1) | instskip(SKIP_1) | instid1(VALU_DEP_2)
	v_cndmask_b32_e32 v58, 0, v58, vcc_lo
	v_cmp_ngt_f32_e32 vcc_lo, 0xc2b17218, v57
	v_cndmask_b32_e32 v57, 0x7f800000, v58, vcc_lo
	s_delay_alu instid0(VALU_DEP_1)
	v_sub_f32_e32 v57, 1.0, v57
.LBB5_46:
	s_and_not1_saveexec_b32 s2, s2
; %bb.47:
	v_mul_f32_e32 v57, v56, v56
	s_mov_b32 s3, 0xba1345e1
	s_delay_alu instid0(VALU_DEP_1) | instid1(SALU_CYCLE_1)
	v_fmaak_f32 v58, s3, v57, 0x3ba10414
	s_delay_alu instid0(VALU_DEP_1) | instskip(NEXT) | instid1(VALU_DEP_1)
	v_fmaak_f32 v58, v57, v58, 0xbcdac9b8
	v_fmaak_f32 v58, v57, v58, 0x3de703be
	s_delay_alu instid0(VALU_DEP_1) | instskip(NEXT) | instid1(VALU_DEP_1)
	v_fmaak_f32 v58, v57, v58, 0xbec09330
	v_fmaak_f32 v57, v57, v58, 0x3e0375d0
	s_delay_alu instid0(VALU_DEP_1)
	v_fma_f32 v57, |v56|, v57, |v56|
; %bb.48:
	s_or_b32 exec_lo, exec_lo, s2
	v_mul_f32_e32 v58, 0x3f3504f3, v12
                                        ; implicit-def: $vgpr59
	s_delay_alu instid0(VALU_DEP_1) | instskip(NEXT) | instid1(VALU_DEP_1)
	v_cmp_nlt_f32_e64 s2, |v58|, 1.0
	s_and_saveexec_b32 s3, s2
	s_delay_alu instid0(SALU_CYCLE_1)
	s_xor_b32 s2, exec_lo, s3
	s_cbranch_execz .LBB5_50
; %bb.49:
	s_mov_b32 s3, 0x378e98ab
	s_delay_alu instid0(SALU_CYCLE_1) | instskip(NEXT) | instid1(VALU_DEP_1)
	v_fma_f32 v59, |v58|, s3, 0xb9c68948
	v_fma_f32 v59, |v58|, v59, 0x3b7cd369
	s_delay_alu instid0(VALU_DEP_1) | instskip(NEXT) | instid1(VALU_DEP_1)
	v_fma_f32 v59, |v58|, v59, 0xbcc618b2
	v_fma_f32 v59, |v58|, v59, 0x3dda74e4
	s_delay_alu instid0(VALU_DEP_1) | instskip(NEXT) | instid1(VALU_DEP_1)
	;; [unrolled: 3-line block ×3, first 2 shown]
	v_fma_f32 v59, |v58|, v59, |v58|
	v_mul_f32_e32 v60, 0xbfb8aa3b, v59
	v_cmp_nlt_f32_e32 vcc_lo, 0x42ce8ed0, v59
	s_delay_alu instid0(VALU_DEP_2) | instskip(SKIP_1) | instid1(VALU_DEP_1)
	v_fma_f32 v61, 0xbfb8aa3b, v59, -v60
	v_rndne_f32_e32 v62, v60
	v_dual_fmamk_f32 v61, v59, 0xb2a5705f, v61 :: v_dual_sub_f32 v60, v60, v62
	s_delay_alu instid0(VALU_DEP_1) | instskip(SKIP_1) | instid1(VALU_DEP_2)
	v_add_f32_e32 v60, v60, v61
	v_cvt_i32_f32_e32 v61, v62
	v_exp_f32_e32 v60, v60
	s_waitcnt_depctr 0xfff
	v_ldexp_f32 v60, v60, v61
	s_delay_alu instid0(VALU_DEP_1) | instskip(SKIP_1) | instid1(VALU_DEP_2)
	v_cndmask_b32_e32 v60, 0, v60, vcc_lo
	v_cmp_ngt_f32_e32 vcc_lo, 0xc2b17218, v59
	v_cndmask_b32_e32 v59, 0x7f800000, v60, vcc_lo
	s_delay_alu instid0(VALU_DEP_1)
	v_sub_f32_e32 v59, 1.0, v59
.LBB5_50:
	s_and_not1_saveexec_b32 s2, s2
; %bb.51:
	v_mul_f32_e32 v59, v58, v58
	s_mov_b32 s3, 0xba1345e1
	s_delay_alu instid0(VALU_DEP_1) | instid1(SALU_CYCLE_1)
	v_fmaak_f32 v60, s3, v59, 0x3ba10414
	s_delay_alu instid0(VALU_DEP_1) | instskip(NEXT) | instid1(VALU_DEP_1)
	v_fmaak_f32 v60, v59, v60, 0xbcdac9b8
	v_fmaak_f32 v60, v59, v60, 0x3de703be
	s_delay_alu instid0(VALU_DEP_1) | instskip(NEXT) | instid1(VALU_DEP_1)
	v_fmaak_f32 v60, v59, v60, 0xbec09330
	v_fmaak_f32 v59, v59, v60, 0x3e0375d0
	s_delay_alu instid0(VALU_DEP_1)
	v_fma_f32 v59, |v58|, v59, |v58|
; %bb.52:
	s_or_b32 exec_lo, exec_lo, s2
	v_mul_f32_e32 v61, 0x3f3504f3, v13
                                        ; implicit-def: $vgpr63
	s_delay_alu instid0(VALU_DEP_1) | instskip(NEXT) | instid1(VALU_DEP_1)
	v_cmp_nlt_f32_e64 s2, |v61|, 1.0
	s_and_saveexec_b32 s3, s2
	s_delay_alu instid0(SALU_CYCLE_1)
	s_xor_b32 s2, exec_lo, s3
	s_cbranch_execz .LBB5_54
; %bb.53:
	s_mov_b32 s3, 0x378e98ab
	s_delay_alu instid0(SALU_CYCLE_1) | instskip(NEXT) | instid1(VALU_DEP_1)
	v_fma_f32 v60, |v61|, s3, 0xb9c68948
	v_fma_f32 v60, |v61|, v60, 0x3b7cd369
	s_delay_alu instid0(VALU_DEP_1) | instskip(NEXT) | instid1(VALU_DEP_1)
	v_fma_f32 v60, |v61|, v60, 0xbcc618b2
	v_fma_f32 v60, |v61|, v60, 0x3dda74e4
	s_delay_alu instid0(VALU_DEP_1) | instskip(NEXT) | instid1(VALU_DEP_1)
	;; [unrolled: 3-line block ×3, first 2 shown]
	v_fma_f32 v60, |v61|, v60, |v61|
	v_mul_f32_e32 v62, 0xbfb8aa3b, v60
	v_cmp_nlt_f32_e32 vcc_lo, 0x42ce8ed0, v60
	s_delay_alu instid0(VALU_DEP_2) | instskip(SKIP_1) | instid1(VALU_DEP_1)
	v_fma_f32 v63, 0xbfb8aa3b, v60, -v62
	v_rndne_f32_e32 v64, v62
	v_dual_fmamk_f32 v63, v60, 0xb2a5705f, v63 :: v_dual_sub_f32 v62, v62, v64
	s_delay_alu instid0(VALU_DEP_1) | instskip(SKIP_1) | instid1(VALU_DEP_2)
	v_add_f32_e32 v62, v62, v63
	v_cvt_i32_f32_e32 v63, v64
	v_exp_f32_e32 v62, v62
	s_waitcnt_depctr 0xfff
	v_ldexp_f32 v62, v62, v63
	s_delay_alu instid0(VALU_DEP_1) | instskip(SKIP_1) | instid1(VALU_DEP_2)
	v_cndmask_b32_e32 v62, 0, v62, vcc_lo
	v_cmp_ngt_f32_e32 vcc_lo, 0xc2b17218, v60
	v_cndmask_b32_e32 v60, 0x7f800000, v62, vcc_lo
	s_delay_alu instid0(VALU_DEP_1)
	v_sub_f32_e32 v63, 1.0, v60
.LBB5_54:
	s_and_not1_saveexec_b32 s2, s2
; %bb.55:
	v_mul_f32_e32 v60, v61, v61
	s_mov_b32 s3, 0xba1345e1
	s_delay_alu instid0(VALU_DEP_1) | instid1(SALU_CYCLE_1)
	v_fmaak_f32 v62, s3, v60, 0x3ba10414
	s_delay_alu instid0(VALU_DEP_1) | instskip(NEXT) | instid1(VALU_DEP_1)
	v_fmaak_f32 v62, v60, v62, 0xbcdac9b8
	v_fmaak_f32 v62, v60, v62, 0x3de703be
	s_delay_alu instid0(VALU_DEP_1) | instskip(NEXT) | instid1(VALU_DEP_1)
	v_fmaak_f32 v62, v60, v62, 0xbec09330
	v_fmaak_f32 v60, v60, v62, 0x3e0375d0
	s_delay_alu instid0(VALU_DEP_1)
	v_fma_f32 v63, |v61|, v60, |v61|
; %bb.56:
	s_or_b32 exec_lo, exec_lo, s2
	v_mul_f32_e32 v64, 0x3f3504f3, v14
                                        ; implicit-def: $vgpr65
	s_delay_alu instid0(VALU_DEP_1) | instskip(NEXT) | instid1(VALU_DEP_1)
	v_cmp_nlt_f32_e64 s2, |v64|, 1.0
	s_and_saveexec_b32 s3, s2
	s_delay_alu instid0(SALU_CYCLE_1)
	s_xor_b32 s2, exec_lo, s3
	s_cbranch_execz .LBB5_58
; %bb.57:
	s_mov_b32 s3, 0x378e98ab
	s_delay_alu instid0(SALU_CYCLE_1) | instskip(NEXT) | instid1(VALU_DEP_1)
	v_fma_f32 v60, |v64|, s3, 0xb9c68948
	v_fma_f32 v60, |v64|, v60, 0x3b7cd369
	s_delay_alu instid0(VALU_DEP_1) | instskip(NEXT) | instid1(VALU_DEP_1)
	v_fma_f32 v60, |v64|, v60, 0xbcc618b2
	v_fma_f32 v60, |v64|, v60, 0x3dda74e4
	s_delay_alu instid0(VALU_DEP_1) | instskip(NEXT) | instid1(VALU_DEP_1)
	;; [unrolled: 3-line block ×3, first 2 shown]
	v_fma_f32 v60, |v64|, v60, |v64|
	v_mul_f32_e32 v62, 0xbfb8aa3b, v60
	v_cmp_nlt_f32_e32 vcc_lo, 0x42ce8ed0, v60
	s_delay_alu instid0(VALU_DEP_2) | instskip(SKIP_1) | instid1(VALU_DEP_1)
	v_fma_f32 v65, 0xbfb8aa3b, v60, -v62
	v_rndne_f32_e32 v66, v62
	v_dual_fmamk_f32 v65, v60, 0xb2a5705f, v65 :: v_dual_sub_f32 v62, v62, v66
	s_delay_alu instid0(VALU_DEP_1) | instskip(SKIP_1) | instid1(VALU_DEP_2)
	v_add_f32_e32 v62, v62, v65
	v_cvt_i32_f32_e32 v65, v66
	v_exp_f32_e32 v62, v62
	s_waitcnt_depctr 0xfff
	v_ldexp_f32 v62, v62, v65
	s_delay_alu instid0(VALU_DEP_1) | instskip(SKIP_1) | instid1(VALU_DEP_2)
	v_cndmask_b32_e32 v62, 0, v62, vcc_lo
	v_cmp_ngt_f32_e32 vcc_lo, 0xc2b17218, v60
	v_cndmask_b32_e32 v60, 0x7f800000, v62, vcc_lo
	s_delay_alu instid0(VALU_DEP_1)
	v_sub_f32_e32 v65, 1.0, v60
.LBB5_58:
	s_and_not1_saveexec_b32 s2, s2
; %bb.59:
	v_mul_f32_e32 v60, v64, v64
	s_mov_b32 s3, 0xba1345e1
	s_delay_alu instid0(VALU_DEP_1) | instid1(SALU_CYCLE_1)
	v_fmaak_f32 v62, s3, v60, 0x3ba10414
	s_delay_alu instid0(VALU_DEP_1) | instskip(NEXT) | instid1(VALU_DEP_1)
	v_fmaak_f32 v62, v60, v62, 0xbcdac9b8
	v_fmaak_f32 v62, v60, v62, 0x3de703be
	s_delay_alu instid0(VALU_DEP_1) | instskip(NEXT) | instid1(VALU_DEP_1)
	v_fmaak_f32 v62, v60, v62, 0xbec09330
	v_fmaak_f32 v60, v60, v62, 0x3e0375d0
	s_delay_alu instid0(VALU_DEP_1)
	v_fma_f32 v65, |v64|, v60, |v64|
; %bb.60:
	s_or_b32 exec_lo, exec_lo, s2
	v_mul_f32_e32 v60, 0x3f3504f3, v15
                                        ; implicit-def: $vgpr62
	s_delay_alu instid0(VALU_DEP_1) | instskip(NEXT) | instid1(VALU_DEP_1)
	v_cmp_nlt_f32_e64 s2, |v60|, 1.0
	s_and_saveexec_b32 s3, s2
	s_delay_alu instid0(SALU_CYCLE_1)
	s_xor_b32 s2, exec_lo, s3
	s_cbranch_execz .LBB5_62
; %bb.61:
	s_mov_b32 s3, 0x378e98ab
	s_delay_alu instid0(SALU_CYCLE_1) | instskip(NEXT) | instid1(VALU_DEP_1)
	v_fma_f32 v62, |v60|, s3, 0xb9c68948
	v_fma_f32 v62, |v60|, v62, 0x3b7cd369
	s_delay_alu instid0(VALU_DEP_1) | instskip(NEXT) | instid1(VALU_DEP_1)
	v_fma_f32 v62, |v60|, v62, 0xbcc618b2
	v_fma_f32 v62, |v60|, v62, 0x3dda74e4
	s_delay_alu instid0(VALU_DEP_1) | instskip(NEXT) | instid1(VALU_DEP_1)
	;; [unrolled: 3-line block ×3, first 2 shown]
	v_fma_f32 v62, |v60|, v62, |v60|
	v_mul_f32_e32 v66, 0xbfb8aa3b, v62
	v_cmp_nlt_f32_e32 vcc_lo, 0x42ce8ed0, v62
	s_delay_alu instid0(VALU_DEP_2) | instskip(SKIP_1) | instid1(VALU_DEP_2)
	v_fma_f32 v67, 0xbfb8aa3b, v62, -v66
	v_rndne_f32_e32 v68, v66
	v_fmamk_f32 v67, v62, 0xb2a5705f, v67
	s_delay_alu instid0(VALU_DEP_2) | instskip(NEXT) | instid1(VALU_DEP_1)
	v_sub_f32_e32 v66, v66, v68
	v_add_f32_e32 v66, v66, v67
	v_cvt_i32_f32_e32 v67, v68
	s_delay_alu instid0(VALU_DEP_2) | instskip(SKIP_2) | instid1(VALU_DEP_1)
	v_exp_f32_e32 v66, v66
	s_waitcnt_depctr 0xfff
	v_ldexp_f32 v66, v66, v67
	v_cndmask_b32_e32 v66, 0, v66, vcc_lo
	v_cmp_ngt_f32_e32 vcc_lo, 0xc2b17218, v62
	s_delay_alu instid0(VALU_DEP_2) | instskip(NEXT) | instid1(VALU_DEP_1)
	v_cndmask_b32_e32 v62, 0x7f800000, v66, vcc_lo
	v_sub_f32_e32 v62, 1.0, v62
.LBB5_62:
	s_and_not1_saveexec_b32 s2, s2
; %bb.63:
	v_mul_f32_e32 v62, v60, v60
	s_mov_b32 s3, 0xba1345e1
	s_delay_alu instid0(VALU_DEP_1) | instid1(SALU_CYCLE_1)
	v_fmaak_f32 v66, s3, v62, 0x3ba10414
	s_delay_alu instid0(VALU_DEP_1) | instskip(NEXT) | instid1(VALU_DEP_1)
	v_fmaak_f32 v66, v62, v66, 0xbcdac9b8
	v_fmaak_f32 v66, v62, v66, 0x3de703be
	s_delay_alu instid0(VALU_DEP_1) | instskip(NEXT) | instid1(VALU_DEP_1)
	v_fmaak_f32 v66, v62, v66, 0xbec09330
	v_fmaak_f32 v62, v62, v66, 0x3e0375d0
	s_delay_alu instid0(VALU_DEP_1)
	v_fma_f32 v62, |v60|, v62, |v60|
; %bb.64:
	s_or_b32 exec_lo, exec_lo, s2
	v_bfi_b32 v64, 0x7fffffff, v65, v64
	v_bfi_b32 v61, 0x7fffffff, v63, v61
	;; [unrolled: 1-line block ×3, first 2 shown]
	v_dual_mul_f32 v14, 0.5, v14 :: v_dual_mul_f32 v13, 0.5, v13
	s_delay_alu instid0(VALU_DEP_4) | instskip(NEXT) | instid1(VALU_DEP_4)
	v_add_f32_e32 v59, 1.0, v64
	v_dual_add_f32 v61, 1.0, v61 :: v_dual_mul_f32 v12, 0.5, v12
	s_delay_alu instid0(VALU_DEP_4) | instskip(SKIP_1) | instid1(VALU_DEP_3)
	v_add_f32_e32 v58, 1.0, v58
	v_bfi_b32 v56, 0x7fffffff, v57, v56
	v_dual_mul_f32 v14, v14, v59 :: v_dual_mul_f32 v13, v13, v61
	s_delay_alu instid0(VALU_DEP_3) | instskip(NEXT) | instid1(VALU_DEP_3)
	v_dual_mul_f32 v31, 0.5, v31 :: v_dual_mul_f32 v12, v12, v58
	v_add_f32_e32 v56, 1.0, v56
	s_delay_alu instid0(VALU_DEP_3) | instskip(SKIP_1) | instid1(VALU_DEP_4)
	v_dual_mul_f32 v2, v2, v14 :: v_dual_mul_f32 v1, v1, v13
	v_bfi_b32 v14, 0x7fffffff, v53, v52
	v_dual_mul_f32 v0, v0, v12 :: v_dual_mul_f32 v29, 0.5, v29
	v_bfi_b32 v12, 0x7fffffff, v55, v54
	v_mul_f32_e32 v13, v31, v56
	v_bfi_b32 v31, 0x7fffffff, v51, v50
	v_mul_f32_e32 v30, 0.5, v30
	v_dual_add_f32 v14, 1.0, v14 :: v_dual_mul_f32 v23, 0.5, v23
	s_delay_alu instid0(VALU_DEP_4) | instskip(SKIP_4) | instid1(VALU_DEP_4)
	v_dual_add_f32 v12, 1.0, v12 :: v_dual_mul_f32 v27, v27, v13
	v_bfi_b32 v13, 0x7fffffff, v49, v48
	v_dual_mul_f32 v28, 0.5, v28 :: v_dual_add_f32 v31, 1.0, v31
	v_dual_mul_f32 v21, 0.5, v21 :: v_dual_mul_f32 v20, 0.5, v20
	v_mul_f32_e32 v9, 0.5, v9
	v_dual_add_f32 v13, 1.0, v13 :: v_dual_mul_f32 v14, v29, v14
	s_delay_alu instid0(VALU_DEP_4) | instskip(SKIP_2) | instid1(VALU_DEP_3)
	v_mul_f32_e32 v28, v28, v31
	v_mul_f32_e32 v8, 0.5, v8
	s_bfe_u32 s2, s15, 0x1e0001
	v_dual_mul_f32 v13, v23, v13 :: v_dual_mul_f32 v12, v30, v12
	v_mul_f32_e32 v25, v25, v14
	v_bfi_b32 v14, 0x7fffffff, v45, v44
	v_bfi_b32 v23, 0x7fffffff, v43, v42
	v_mul_f32_e32 v24, v24, v28
	v_mul_f32_e32 v26, v26, v12
	v_bfi_b32 v12, 0x7fffffff, v47, v46
	v_add_f32_e32 v28, 1.0, v14
	v_dual_mul_f32 v22, 0.5, v22 :: v_dual_add_f32 v23, 1.0, v23
	s_delay_alu instid0(VALU_DEP_3) | instskip(SKIP_2) | instid1(VALU_DEP_2)
	v_dual_mul_f32 v15, 0.5, v15 :: v_dual_add_f32 v12, 1.0, v12
	s_mul_i32 s3, s2, 0x5000
	s_mul_hi_u32 s2, s2, 0x5000
	v_mul_f32_e32 v20, v20, v23
	v_mul_f32_e32 v14, v19, v13
	v_bfi_b32 v13, 0x7fffffff, v41, v40
	v_mul_f32_e32 v19, v21, v28
	v_dual_mul_f32 v12, v22, v12 :: v_dual_mul_f32 v21, 0.5, v11
	s_add_u32 s0, s0, s3
	s_delay_alu instid0(VALU_DEP_3) | instskip(SKIP_1) | instid1(VALU_DEP_2)
	v_add_f32_e32 v22, 1.0, v13
	s_addc_u32 s1, s1, s2
	v_mul_f32_e32 v13, v18, v12
	v_bfi_b32 v18, 0x7fffffff, v37, v36
	s_delay_alu instid0(VALU_DEP_1) | instskip(NEXT) | instid1(VALU_DEP_1)
	v_add_f32_e32 v18, 1.0, v18
	v_mul_f32_e32 v9, v9, v18
	v_mul_f32_e32 v11, v16, v20
	v_bfi_b32 v20, 0x7fffffff, v62, v60
	s_delay_alu instid0(VALU_DEP_3) | instskip(NEXT) | instid1(VALU_DEP_2)
	v_dual_mul_f32 v10, 0.5, v10 :: v_dual_mul_f32 v5, v5, v9
	v_add_f32_e32 v20, 1.0, v20
	s_delay_alu instid0(VALU_DEP_1) | instskip(NEXT) | instid1(VALU_DEP_1)
	v_dual_mul_f32 v16, v21, v22 :: v_dual_mul_f32 v15, v15, v20
	v_dual_mul_f32 v12, v17, v19 :: v_dual_mul_f32 v7, v7, v16
	v_bfi_b32 v17, 0x7fffffff, v39, v38
	v_bfi_b32 v19, 0x7fffffff, v35, v34
	s_delay_alu instid0(VALU_DEP_4) | instskip(NEXT) | instid1(VALU_DEP_3)
	v_mul_f32_e32 v3, v3, v15
	v_add_f32_e32 v17, 1.0, v17
	s_delay_alu instid0(VALU_DEP_1) | instskip(NEXT) | instid1(VALU_DEP_1)
	v_dual_add_f32 v19, 1.0, v19 :: v_dual_mul_f32 v10, v10, v17
	v_mul_f32_e32 v8, v8, v19
	s_delay_alu instid0(VALU_DEP_2) | instskip(NEXT) | instid1(VALU_DEP_2)
	v_mul_f32_e32 v6, v6, v10
	v_mul_f32_e32 v4, v4, v8
	v_lshlrev_b32_e32 v8, 2, v33
	s_clause 0x3
	global_store_b128 v8, v[4:7], s[0:1]
	global_store_b128 v8, v[11:14], s[0:1] offset:16
	global_store_b128 v32, v[24:27], s[0:1]
	global_store_b128 v32, v[0:3], s[0:1] offset:16
	s_nop 0
	s_sendmsg sendmsg(MSG_DEALLOC_VGPRS)
	s_endpgm
	.section	.rodata,"a",@progbits
	.p2align	6, 0x0
	.amdhsa_kernel _Z12geglu_kernelIffLi160ELi5120ELi8ELi2EEvPT_PKS0_
		.amdhsa_group_segment_fixed_size 0
		.amdhsa_private_segment_fixed_size 0
		.amdhsa_kernarg_size 16
		.amdhsa_user_sgpr_count 15
		.amdhsa_user_sgpr_dispatch_ptr 0
		.amdhsa_user_sgpr_queue_ptr 0
		.amdhsa_user_sgpr_kernarg_segment_ptr 1
		.amdhsa_user_sgpr_dispatch_id 0
		.amdhsa_user_sgpr_private_segment_size 0
		.amdhsa_wavefront_size32 1
		.amdhsa_uses_dynamic_stack 0
		.amdhsa_enable_private_segment 0
		.amdhsa_system_sgpr_workgroup_id_x 1
		.amdhsa_system_sgpr_workgroup_id_y 0
		.amdhsa_system_sgpr_workgroup_id_z 0
		.amdhsa_system_sgpr_workgroup_info 0
		.amdhsa_system_vgpr_workitem_id 0
		.amdhsa_next_free_vgpr 69
		.amdhsa_next_free_sgpr 16
		.amdhsa_reserve_vcc 1
		.amdhsa_float_round_mode_32 0
		.amdhsa_float_round_mode_16_64 0
		.amdhsa_float_denorm_mode_32 3
		.amdhsa_float_denorm_mode_16_64 3
		.amdhsa_dx10_clamp 1
		.amdhsa_ieee_mode 1
		.amdhsa_fp16_overflow 0
		.amdhsa_workgroup_processor_mode 1
		.amdhsa_memory_ordered 1
		.amdhsa_forward_progress 0
		.amdhsa_shared_vgpr_count 0
		.amdhsa_exception_fp_ieee_invalid_op 0
		.amdhsa_exception_fp_denorm_src 0
		.amdhsa_exception_fp_ieee_div_zero 0
		.amdhsa_exception_fp_ieee_overflow 0
		.amdhsa_exception_fp_ieee_underflow 0
		.amdhsa_exception_fp_ieee_inexact 0
		.amdhsa_exception_int_div_zero 0
	.end_amdhsa_kernel
	.section	.text._Z12geglu_kernelIffLi160ELi5120ELi8ELi2EEvPT_PKS0_,"axG",@progbits,_Z12geglu_kernelIffLi160ELi5120ELi8ELi2EEvPT_PKS0_,comdat
.Lfunc_end5:
	.size	_Z12geglu_kernelIffLi160ELi5120ELi8ELi2EEvPT_PKS0_, .Lfunc_end5-_Z12geglu_kernelIffLi160ELi5120ELi8ELi2EEvPT_PKS0_
                                        ; -- End function
	.section	.AMDGPU.csdata,"",@progbits
; Kernel info:
; codeLenInByte = 6096
; NumSgprs: 18
; NumVgprs: 69
; ScratchSize: 0
; MemoryBound: 0
; FloatMode: 240
; IeeeMode: 1
; LDSByteSize: 0 bytes/workgroup (compile time only)
; SGPRBlocks: 2
; VGPRBlocks: 8
; NumSGPRsForWavesPerEU: 18
; NumVGPRsForWavesPerEU: 69
; Occupancy: 16
; WaveLimiterHint : 0
; COMPUTE_PGM_RSRC2:SCRATCH_EN: 0
; COMPUTE_PGM_RSRC2:USER_SGPR: 15
; COMPUTE_PGM_RSRC2:TRAP_HANDLER: 0
; COMPUTE_PGM_RSRC2:TGID_X_EN: 1
; COMPUTE_PGM_RSRC2:TGID_Y_EN: 0
; COMPUTE_PGM_RSRC2:TGID_Z_EN: 0
; COMPUTE_PGM_RSRC2:TIDIG_COMP_CNT: 0
	.text
	.p2alignl 7, 3214868480
	.fill 96, 4, 3214868480
	.type	__hip_cuid_dabf390467c5e175,@object ; @__hip_cuid_dabf390467c5e175
	.section	.bss,"aw",@nobits
	.globl	__hip_cuid_dabf390467c5e175
__hip_cuid_dabf390467c5e175:
	.byte	0                               ; 0x0
	.size	__hip_cuid_dabf390467c5e175, 1

	.ident	"AMD clang version 19.0.0git (https://github.com/RadeonOpenCompute/llvm-project roc-6.4.0 25133 c7fe45cf4b819c5991fe208aaa96edf142730f1d)"
	.section	".note.GNU-stack","",@progbits
	.addrsig
	.addrsig_sym __hip_cuid_dabf390467c5e175
	.amdgpu_metadata
---
amdhsa.kernels:
  - .args:
      - .address_space:  global
        .offset:         0
        .size:           8
        .value_kind:     global_buffer
      - .address_space:  global
        .offset:         8
        .size:           8
        .value_kind:     global_buffer
    .group_segment_fixed_size: 0
    .kernarg_segment_align: 8
    .kernarg_segment_size: 16
    .language:       OpenCL C
    .language_version:
      - 2
      - 0
    .max_flat_workgroup_size: 1024
    .name:           _Z12geglu_kernelIffLi160ELi1280ELi8ELi1EEvPT_PKS0_
    .private_segment_fixed_size: 0
    .sgpr_count:     18
    .sgpr_spill_count: 0
    .symbol:         _Z12geglu_kernelIffLi160ELi1280ELi8ELi1EEvPT_PKS0_.kd
    .uniform_work_group_size: 1
    .uses_dynamic_stack: false
    .vgpr_count:     36
    .vgpr_spill_count: 0
    .wavefront_size: 32
    .workgroup_processor_mode: 1
  - .args:
      - .address_space:  global
        .offset:         0
        .size:           8
        .value_kind:     global_buffer
      - .address_space:  global
        .offset:         8
        .size:           8
        .value_kind:     global_buffer
    .group_segment_fixed_size: 0
    .kernarg_segment_align: 8
    .kernarg_segment_size: 16
    .language:       OpenCL C
    .language_version:
      - 2
      - 0
    .max_flat_workgroup_size: 1024
    .name:           _Z12geglu_kernelIffLi160ELi2560ELi8ELi1EEvPT_PKS0_
    .private_segment_fixed_size: 0
    .sgpr_count:     18
    .sgpr_spill_count: 0
    .symbol:         _Z12geglu_kernelIffLi160ELi2560ELi8ELi1EEvPT_PKS0_.kd
    .uniform_work_group_size: 1
    .uses_dynamic_stack: false
    .vgpr_count:     36
    .vgpr_spill_count: 0
    .wavefront_size: 32
    .workgroup_processor_mode: 1
  - .args:
      - .address_space:  global
        .offset:         0
        .size:           8
        .value_kind:     global_buffer
      - .address_space:  global
        .offset:         8
        .size:           8
        .value_kind:     global_buffer
    .group_segment_fixed_size: 0
    .kernarg_segment_align: 8
    .kernarg_segment_size: 16
    .language:       OpenCL C
    .language_version:
      - 2
      - 0
    .max_flat_workgroup_size: 1024
    .name:           _Z12geglu_kernelIffLi160ELi5120ELi8ELi1EEvPT_PKS0_
    .private_segment_fixed_size: 0
    .sgpr_count:     18
    .sgpr_spill_count: 0
    .symbol:         _Z12geglu_kernelIffLi160ELi5120ELi8ELi1EEvPT_PKS0_.kd
    .uniform_work_group_size: 1
    .uses_dynamic_stack: false
    .vgpr_count:     36
    .vgpr_spill_count: 0
    .wavefront_size: 32
    .workgroup_processor_mode: 1
  - .args:
      - .address_space:  global
        .offset:         0
        .size:           8
        .value_kind:     global_buffer
      - .address_space:  global
        .offset:         8
        .size:           8
        .value_kind:     global_buffer
    .group_segment_fixed_size: 0
    .kernarg_segment_align: 8
    .kernarg_segment_size: 16
    .language:       OpenCL C
    .language_version:
      - 2
      - 0
    .max_flat_workgroup_size: 1024
    .name:           _Z12geglu_kernelIffLi160ELi1280ELi8ELi2EEvPT_PKS0_
    .private_segment_fixed_size: 0
    .sgpr_count:     18
    .sgpr_spill_count: 0
    .symbol:         _Z12geglu_kernelIffLi160ELi1280ELi8ELi2EEvPT_PKS0_.kd
    .uniform_work_group_size: 1
    .uses_dynamic_stack: false
    .vgpr_count:     68
    .vgpr_spill_count: 0
    .wavefront_size: 32
    .workgroup_processor_mode: 1
  - .args:
      - .address_space:  global
        .offset:         0
        .size:           8
        .value_kind:     global_buffer
      - .address_space:  global
        .offset:         8
        .size:           8
        .value_kind:     global_buffer
    .group_segment_fixed_size: 0
    .kernarg_segment_align: 8
    .kernarg_segment_size: 16
    .language:       OpenCL C
    .language_version:
      - 2
      - 0
    .max_flat_workgroup_size: 1024
    .name:           _Z12geglu_kernelIffLi160ELi2560ELi8ELi2EEvPT_PKS0_
    .private_segment_fixed_size: 0
    .sgpr_count:     18
    .sgpr_spill_count: 0
    .symbol:         _Z12geglu_kernelIffLi160ELi2560ELi8ELi2EEvPT_PKS0_.kd
    .uniform_work_group_size: 1
    .uses_dynamic_stack: false
    .vgpr_count:     68
    .vgpr_spill_count: 0
    .wavefront_size: 32
    .workgroup_processor_mode: 1
  - .args:
      - .address_space:  global
        .offset:         0
        .size:           8
        .value_kind:     global_buffer
      - .address_space:  global
        .offset:         8
        .size:           8
        .value_kind:     global_buffer
    .group_segment_fixed_size: 0
    .kernarg_segment_align: 8
    .kernarg_segment_size: 16
    .language:       OpenCL C
    .language_version:
      - 2
      - 0
    .max_flat_workgroup_size: 1024
    .name:           _Z12geglu_kernelIffLi160ELi5120ELi8ELi2EEvPT_PKS0_
    .private_segment_fixed_size: 0
    .sgpr_count:     18
    .sgpr_spill_count: 0
    .symbol:         _Z12geglu_kernelIffLi160ELi5120ELi8ELi2EEvPT_PKS0_.kd
    .uniform_work_group_size: 1
    .uses_dynamic_stack: false
    .vgpr_count:     69
    .vgpr_spill_count: 0
    .wavefront_size: 32
    .workgroup_processor_mode: 1
amdhsa.target:   amdgcn-amd-amdhsa--gfx1100
amdhsa.version:
  - 1
  - 2
...

	.end_amdgpu_metadata
